;; amdgpu-corpus repo=ROCm/rocFFT kind=compiled arch=gfx906 opt=O3
	.text
	.amdgcn_target "amdgcn-amd-amdhsa--gfx906"
	.amdhsa_code_object_version 6
	.protected	fft_rtc_fwd_len924_factors_2_2_3_7_11_wgs_44_tpt_44_halfLds_sp_op_CI_CI_sbrr_dirReg ; -- Begin function fft_rtc_fwd_len924_factors_2_2_3_7_11_wgs_44_tpt_44_halfLds_sp_op_CI_CI_sbrr_dirReg
	.globl	fft_rtc_fwd_len924_factors_2_2_3_7_11_wgs_44_tpt_44_halfLds_sp_op_CI_CI_sbrr_dirReg
	.p2align	8
	.type	fft_rtc_fwd_len924_factors_2_2_3_7_11_wgs_44_tpt_44_halfLds_sp_op_CI_CI_sbrr_dirReg,@function
fft_rtc_fwd_len924_factors_2_2_3_7_11_wgs_44_tpt_44_halfLds_sp_op_CI_CI_sbrr_dirReg: ; @fft_rtc_fwd_len924_factors_2_2_3_7_11_wgs_44_tpt_44_halfLds_sp_op_CI_CI_sbrr_dirReg
; %bb.0:
	s_load_dwordx4 s[16:19], s[4:5], 0x18
	s_load_dwordx4 s[8:11], s[4:5], 0x0
	;; [unrolled: 1-line block ×3, first 2 shown]
	v_mul_u32_u24_e32 v1, 0x5d2, v0
	v_mov_b32_e32 v5, 0
	s_waitcnt lgkmcnt(0)
	s_load_dwordx2 s[20:21], s[16:17], 0x0
	s_load_dwordx2 s[2:3], s[18:19], 0x0
	v_cmp_lt_u64_e64 s[0:1], s[10:11], 2
	v_mov_b32_e32 v25, 0
	v_add_u32_sdwa v7, s6, v1 dst_sel:DWORD dst_unused:UNUSED_PAD src0_sel:DWORD src1_sel:WORD_1
	v_mov_b32_e32 v8, v5
	s_and_b64 vcc, exec, s[0:1]
	v_mov_b32_e32 v26, 0
	s_cbranch_vccnz .LBB0_8
; %bb.1:
	s_load_dwordx2 s[0:1], s[4:5], 0x10
	s_add_u32 s6, s18, 8
	s_addc_u32 s7, s19, 0
	s_add_u32 s22, s16, 8
	s_addc_u32 s23, s17, 0
	v_mov_b32_e32 v25, 0
	s_waitcnt lgkmcnt(0)
	s_add_u32 s24, s0, 8
	v_mov_b32_e32 v26, 0
	v_mov_b32_e32 v1, v25
	s_addc_u32 s25, s1, 0
	s_mov_b64 s[26:27], 1
	v_mov_b32_e32 v2, v26
.LBB0_2:                                ; =>This Inner Loop Header: Depth=1
	s_load_dwordx2 s[28:29], s[24:25], 0x0
                                        ; implicit-def: $vgpr3_vgpr4
	s_waitcnt lgkmcnt(0)
	v_or_b32_e32 v6, s29, v8
	v_cmp_ne_u64_e32 vcc, 0, v[5:6]
	s_and_saveexec_b64 s[0:1], vcc
	s_xor_b64 s[30:31], exec, s[0:1]
	s_cbranch_execz .LBB0_4
; %bb.3:                                ;   in Loop: Header=BB0_2 Depth=1
	v_cvt_f32_u32_e32 v3, s28
	v_cvt_f32_u32_e32 v4, s29
	s_sub_u32 s0, 0, s28
	s_subb_u32 s1, 0, s29
	v_mac_f32_e32 v3, 0x4f800000, v4
	v_rcp_f32_e32 v3, v3
	v_mul_f32_e32 v3, 0x5f7ffffc, v3
	v_mul_f32_e32 v4, 0x2f800000, v3
	v_trunc_f32_e32 v4, v4
	v_mac_f32_e32 v3, 0xcf800000, v4
	v_cvt_u32_f32_e32 v4, v4
	v_cvt_u32_f32_e32 v3, v3
	v_mul_lo_u32 v6, s0, v4
	v_mul_hi_u32 v9, s0, v3
	v_mul_lo_u32 v11, s1, v3
	v_mul_lo_u32 v10, s0, v3
	v_add_u32_e32 v6, v9, v6
	v_add_u32_e32 v6, v6, v11
	v_mul_hi_u32 v9, v3, v10
	v_mul_lo_u32 v11, v3, v6
	v_mul_hi_u32 v13, v3, v6
	v_mul_hi_u32 v12, v4, v10
	v_mul_lo_u32 v10, v4, v10
	v_mul_hi_u32 v14, v4, v6
	v_add_co_u32_e32 v9, vcc, v9, v11
	v_addc_co_u32_e32 v11, vcc, 0, v13, vcc
	v_mul_lo_u32 v6, v4, v6
	v_add_co_u32_e32 v9, vcc, v9, v10
	v_addc_co_u32_e32 v9, vcc, v11, v12, vcc
	v_addc_co_u32_e32 v10, vcc, 0, v14, vcc
	v_add_co_u32_e32 v6, vcc, v9, v6
	v_addc_co_u32_e32 v9, vcc, 0, v10, vcc
	v_add_co_u32_e32 v3, vcc, v3, v6
	v_addc_co_u32_e32 v4, vcc, v4, v9, vcc
	v_mul_lo_u32 v6, s0, v4
	v_mul_hi_u32 v9, s0, v3
	v_mul_lo_u32 v10, s1, v3
	v_mul_lo_u32 v11, s0, v3
	v_add_u32_e32 v6, v9, v6
	v_add_u32_e32 v6, v6, v10
	v_mul_lo_u32 v12, v3, v6
	v_mul_hi_u32 v13, v3, v11
	v_mul_hi_u32 v14, v3, v6
	;; [unrolled: 1-line block ×3, first 2 shown]
	v_mul_lo_u32 v11, v4, v11
	v_mul_hi_u32 v9, v4, v6
	v_add_co_u32_e32 v12, vcc, v13, v12
	v_addc_co_u32_e32 v13, vcc, 0, v14, vcc
	v_mul_lo_u32 v6, v4, v6
	v_add_co_u32_e32 v11, vcc, v12, v11
	v_addc_co_u32_e32 v10, vcc, v13, v10, vcc
	v_addc_co_u32_e32 v9, vcc, 0, v9, vcc
	v_add_co_u32_e32 v6, vcc, v10, v6
	v_addc_co_u32_e32 v9, vcc, 0, v9, vcc
	v_add_co_u32_e32 v6, vcc, v3, v6
	v_addc_co_u32_e32 v9, vcc, v4, v9, vcc
	v_mad_u64_u32 v[3:4], s[0:1], v7, v9, 0
	v_mul_hi_u32 v10, v7, v6
	v_add_co_u32_e32 v11, vcc, v10, v3
	v_addc_co_u32_e32 v12, vcc, 0, v4, vcc
	v_mad_u64_u32 v[3:4], s[0:1], v8, v6, 0
	v_mad_u64_u32 v[9:10], s[0:1], v8, v9, 0
	v_add_co_u32_e32 v3, vcc, v11, v3
	v_addc_co_u32_e32 v3, vcc, v12, v4, vcc
	v_addc_co_u32_e32 v4, vcc, 0, v10, vcc
	v_add_co_u32_e32 v6, vcc, v3, v9
	v_addc_co_u32_e32 v9, vcc, 0, v4, vcc
	v_mul_lo_u32 v10, s29, v6
	v_mul_lo_u32 v11, s28, v9
	v_mad_u64_u32 v[3:4], s[0:1], s28, v6, 0
	v_add3_u32 v4, v4, v11, v10
	v_sub_u32_e32 v10, v8, v4
	v_mov_b32_e32 v11, s29
	v_sub_co_u32_e32 v3, vcc, v7, v3
	v_subb_co_u32_e64 v10, s[0:1], v10, v11, vcc
	v_subrev_co_u32_e64 v11, s[0:1], s28, v3
	v_subbrev_co_u32_e64 v10, s[0:1], 0, v10, s[0:1]
	v_cmp_le_u32_e64 s[0:1], s29, v10
	v_cndmask_b32_e64 v12, 0, -1, s[0:1]
	v_cmp_le_u32_e64 s[0:1], s28, v11
	v_cndmask_b32_e64 v11, 0, -1, s[0:1]
	v_cmp_eq_u32_e64 s[0:1], s29, v10
	v_cndmask_b32_e64 v10, v12, v11, s[0:1]
	v_add_co_u32_e64 v11, s[0:1], 2, v6
	v_addc_co_u32_e64 v12, s[0:1], 0, v9, s[0:1]
	v_add_co_u32_e64 v13, s[0:1], 1, v6
	v_addc_co_u32_e64 v14, s[0:1], 0, v9, s[0:1]
	v_subb_co_u32_e32 v4, vcc, v8, v4, vcc
	v_cmp_ne_u32_e64 s[0:1], 0, v10
	v_cmp_le_u32_e32 vcc, s29, v4
	v_cndmask_b32_e64 v10, v14, v12, s[0:1]
	v_cndmask_b32_e64 v12, 0, -1, vcc
	v_cmp_le_u32_e32 vcc, s28, v3
	v_cndmask_b32_e64 v3, 0, -1, vcc
	v_cmp_eq_u32_e32 vcc, s29, v4
	v_cndmask_b32_e32 v3, v12, v3, vcc
	v_cmp_ne_u32_e32 vcc, 0, v3
	v_cndmask_b32_e64 v3, v13, v11, s[0:1]
	v_cndmask_b32_e32 v4, v9, v10, vcc
	v_cndmask_b32_e32 v3, v6, v3, vcc
.LBB0_4:                                ;   in Loop: Header=BB0_2 Depth=1
	s_andn2_saveexec_b64 s[0:1], s[30:31]
	s_cbranch_execz .LBB0_6
; %bb.5:                                ;   in Loop: Header=BB0_2 Depth=1
	v_cvt_f32_u32_e32 v3, s28
	s_sub_i32 s30, 0, s28
	v_rcp_iflag_f32_e32 v3, v3
	v_mul_f32_e32 v3, 0x4f7ffffe, v3
	v_cvt_u32_f32_e32 v3, v3
	v_mul_lo_u32 v4, s30, v3
	v_mul_hi_u32 v4, v3, v4
	v_add_u32_e32 v3, v3, v4
	v_mul_hi_u32 v3, v7, v3
	v_mul_lo_u32 v4, v3, s28
	v_add_u32_e32 v6, 1, v3
	v_sub_u32_e32 v4, v7, v4
	v_subrev_u32_e32 v9, s28, v4
	v_cmp_le_u32_e32 vcc, s28, v4
	v_cndmask_b32_e32 v4, v4, v9, vcc
	v_cndmask_b32_e32 v3, v3, v6, vcc
	v_add_u32_e32 v6, 1, v3
	v_cmp_le_u32_e32 vcc, s28, v4
	v_cndmask_b32_e32 v3, v3, v6, vcc
	v_mov_b32_e32 v4, v5
.LBB0_6:                                ;   in Loop: Header=BB0_2 Depth=1
	s_or_b64 exec, exec, s[0:1]
	v_mul_lo_u32 v6, v4, s28
	v_mul_lo_u32 v11, v3, s29
	v_mad_u64_u32 v[9:10], s[0:1], v3, s28, 0
	s_load_dwordx2 s[0:1], s[22:23], 0x0
	s_load_dwordx2 s[28:29], s[6:7], 0x0
	v_add3_u32 v6, v10, v11, v6
	v_sub_co_u32_e32 v7, vcc, v7, v9
	v_subb_co_u32_e32 v6, vcc, v8, v6, vcc
	s_waitcnt lgkmcnt(0)
	v_mul_lo_u32 v8, s0, v6
	v_mul_lo_u32 v9, s1, v7
	v_mad_u64_u32 v[25:26], s[0:1], s0, v7, v[25:26]
	v_mul_lo_u32 v6, s28, v6
	v_mul_lo_u32 v10, s29, v7
	v_mad_u64_u32 v[1:2], s[0:1], s28, v7, v[1:2]
	s_add_u32 s26, s26, 1
	s_addc_u32 s27, s27, 0
	s_add_u32 s6, s6, 8
	v_add3_u32 v2, v10, v2, v6
	s_addc_u32 s7, s7, 0
	v_mov_b32_e32 v6, s10
	s_add_u32 s22, s22, 8
	v_mov_b32_e32 v7, s11
	s_addc_u32 s23, s23, 0
	v_cmp_ge_u64_e32 vcc, s[26:27], v[6:7]
	s_add_u32 s24, s24, 8
	v_add3_u32 v26, v9, v26, v8
	s_addc_u32 s25, s25, 0
	s_cbranch_vccnz .LBB0_9
; %bb.7:                                ;   in Loop: Header=BB0_2 Depth=1
	v_mov_b32_e32 v8, v4
	v_mov_b32_e32 v7, v3
	s_branch .LBB0_2
.LBB0_8:
	v_mov_b32_e32 v1, v25
	v_mov_b32_e32 v3, v7
	;; [unrolled: 1-line block ×4, first 2 shown]
.LBB0_9:
	s_load_dwordx2 s[0:1], s[4:5], 0x28
	s_lshl_b64 s[10:11], s[10:11], 3
	s_add_u32 s4, s18, s10
	s_addc_u32 s5, s19, s11
                                        ; implicit-def: $sgpr18
                                        ; implicit-def: $vgpr59
                                        ; implicit-def: $vgpr60
                                        ; implicit-def: $vgpr61
                                        ; implicit-def: $vgpr62
                                        ; implicit-def: $vgpr63
                                        ; implicit-def: $vgpr64
                                        ; implicit-def: $vgpr65
                                        ; implicit-def: $vgpr66
                                        ; implicit-def: $vgpr67
                                        ; implicit-def: $vgpr68
	s_waitcnt lgkmcnt(0)
	v_cmp_gt_u64_e32 vcc, s[0:1], v[3:4]
	v_cmp_le_u64_e64 s[0:1], s[0:1], v[3:4]
	s_and_saveexec_b64 s[6:7], s[0:1]
	s_xor_b64 s[0:1], exec, s[6:7]
	s_cbranch_execz .LBB0_11
; %bb.10:
	s_mov_b32 s6, 0x5d1745e
	v_mul_hi_u32 v5, v0, s6
	s_mov_b32 s18, 0
                                        ; implicit-def: $vgpr25_vgpr26
	v_mul_u32_u24_e32 v5, 44, v5
	v_sub_u32_e32 v59, v0, v5
	v_add_u32_e32 v60, 44, v59
	v_add_u32_e32 v61, 0x58, v59
	;; [unrolled: 1-line block ×9, first 2 shown]
                                        ; implicit-def: $vgpr0
.LBB0_11:
	s_or_saveexec_b64 s[6:7], s[0:1]
	s_load_dwordx2 s[4:5], s[4:5], 0x0
	v_mov_b32_e32 v24, s18
	v_mov_b32_e32 v23, s18
                                        ; implicit-def: $vgpr6
                                        ; implicit-def: $vgpr8
                                        ; implicit-def: $vgpr10
                                        ; implicit-def: $vgpr12
                                        ; implicit-def: $vgpr14
                                        ; implicit-def: $vgpr16
                                        ; implicit-def: $vgpr18
                                        ; implicit-def: $vgpr20
                                        ; implicit-def: $vgpr22
                                        ; implicit-def: $vgpr29
                                        ; implicit-def: $vgpr27
                                        ; implicit-def: $vgpr33
                                        ; implicit-def: $vgpr31
                                        ; implicit-def: $vgpr37
                                        ; implicit-def: $vgpr35
                                        ; implicit-def: $vgpr41
                                        ; implicit-def: $vgpr39
                                        ; implicit-def: $vgpr43
                                        ; implicit-def: $vgpr56
                                        ; implicit-def: $vgpr47
                                        ; implicit-def: $vgpr45
	s_xor_b64 exec, exec, s[6:7]
	s_cbranch_execz .LBB0_15
; %bb.12:
	s_add_u32 s0, s16, s10
	s_mov_b32 s10, 0x5d1745e
	v_mul_hi_u32 v5, v0, s10
	s_addc_u32 s1, s17, s11
	s_load_dwordx2 s[0:1], s[0:1], 0x0
	v_mul_u32_u24_e32 v5, 44, v5
	v_sub_u32_e32 v59, v0, v5
	v_mad_u64_u32 v[5:6], s[10:11], s20, v59, 0
	s_waitcnt lgkmcnt(0)
	v_mul_lo_u32 v11, s1, v3
	v_mul_lo_u32 v12, s0, v4
	v_mad_u64_u32 v[7:8], s[0:1], s0, v3, 0
	v_mov_b32_e32 v0, v6
	v_mad_u64_u32 v[9:10], s[0:1], s21, v59, v[0:1]
	v_add3_u32 v8, v8, v12, v11
	v_lshlrev_b64 v[7:8], 3, v[7:8]
	v_mov_b32_e32 v0, s13
	v_add_co_u32_e64 v11, s[0:1], s12, v7
	v_add_u32_e32 v13, 0x1ce, v59
	v_mov_b32_e32 v6, v9
	v_addc_co_u32_e64 v12, s[0:1], v0, v8, s[0:1]
	v_mad_u64_u32 v[9:10], s[0:1], s20, v13, 0
	v_lshlrev_b64 v[7:8], 3, v[25:26]
	v_add_u32_e32 v60, 44, v59
	v_add_co_u32_e64 v0, s[0:1], v11, v7
	v_mov_b32_e32 v7, v10
	v_addc_co_u32_e64 v25, s[0:1], v12, v8, s[0:1]
	v_mad_u64_u32 v[7:8], s[0:1], s21, v13, v[7:8]
	v_mad_u64_u32 v[11:12], s[0:1], s20, v60, 0
	v_lshlrev_b64 v[5:6], 3, v[5:6]
	v_mov_b32_e32 v10, v7
	v_add_co_u32_e64 v23, s[0:1], v0, v5
	v_mov_b32_e32 v7, v12
	v_addc_co_u32_e64 v24, s[0:1], v25, v6, s[0:1]
	v_lshlrev_b64 v[5:6], 3, v[9:10]
	v_mad_u64_u32 v[7:8], s[0:1], s21, v60, v[7:8]
	v_add_u32_e32 v10, 0x1fa, v59
	v_mad_u64_u32 v[8:9], s[0:1], s20, v10, 0
	v_add_co_u32_e64 v38, s[0:1], v0, v5
	v_mov_b32_e32 v12, v7
	v_mov_b32_e32 v7, v9
	v_addc_co_u32_e64 v39, s[0:1], v25, v6, s[0:1]
	v_mad_u64_u32 v[9:10], s[0:1], s21, v10, v[7:8]
	v_add_u32_e32 v61, 0x58, v59
	v_lshlrev_b64 v[5:6], 3, v[11:12]
	v_mad_u64_u32 v[10:11], s[0:1], s20, v61, 0
	v_add_co_u32_e64 v40, s[0:1], v0, v5
	v_mov_b32_e32 v7, v11
	v_addc_co_u32_e64 v41, s[0:1], v25, v6, s[0:1]
	v_lshlrev_b64 v[5:6], 3, v[8:9]
	v_mad_u64_u32 v[7:8], s[0:1], s21, v61, v[7:8]
	v_add_u32_e32 v12, 0x226, v59
	v_mad_u64_u32 v[8:9], s[0:1], s20, v12, 0
	v_add_co_u32_e64 v42, s[0:1], v0, v5
	v_mov_b32_e32 v11, v7
	v_mov_b32_e32 v7, v9
	v_addc_co_u32_e64 v43, s[0:1], v25, v6, s[0:1]
	v_lshlrev_b64 v[5:6], 3, v[10:11]
	v_mad_u64_u32 v[9:10], s[0:1], s21, v12, v[7:8]
	v_add_u32_e32 v62, 0x84, v59
	v_mad_u64_u32 v[10:11], s[0:1], s20, v62, 0
	v_add_co_u32_e64 v44, s[0:1], v0, v5
	v_mov_b32_e32 v7, v11
	v_addc_co_u32_e64 v45, s[0:1], v25, v6, s[0:1]
	v_lshlrev_b64 v[5:6], 3, v[8:9]
	v_mad_u64_u32 v[7:8], s[0:1], s21, v62, v[7:8]
	v_add_u32_e32 v12, 0x252, v59
	v_mad_u64_u32 v[8:9], s[0:1], s20, v12, 0
	v_add_co_u32_e64 v46, s[0:1], v0, v5
	v_mov_b32_e32 v11, v7
	v_mov_b32_e32 v7, v9
	v_addc_co_u32_e64 v47, s[0:1], v25, v6, s[0:1]
	v_lshlrev_b64 v[5:6], 3, v[10:11]
	v_mad_u64_u32 v[9:10], s[0:1], s21, v12, v[7:8]
	v_add_u32_e32 v63, 0xb0, v59
	;; [unrolled: 15-line block ×7, first 2 shown]
	v_mad_u64_u32 v[10:11], s[0:1], s20, v68, 0
	v_add_co_u32_e64 v79, s[0:1], v0, v5
	v_mov_b32_e32 v7, v11
	v_addc_co_u32_e64 v80, s[0:1], v25, v6, s[0:1]
	v_lshlrev_b64 v[5:6], 3, v[8:9]
	v_mad_u64_u32 v[7:8], s[0:1], s21, v68, v[7:8]
	v_add_u32_e32 v12, 0x35a, v59
	v_mad_u64_u32 v[8:9], s[0:1], s20, v12, 0
	v_add_co_u32_e64 v81, s[0:1], v0, v5
	v_mov_b32_e32 v11, v7
	v_mov_b32_e32 v7, v9
	v_addc_co_u32_e64 v82, s[0:1], v25, v6, s[0:1]
	v_lshlrev_b64 v[5:6], 3, v[10:11]
	v_mad_u64_u32 v[9:10], s[0:1], s21, v12, v[7:8]
	v_add_co_u32_e64 v83, s[0:1], v0, v5
	v_addc_co_u32_e64 v84, s[0:1], v25, v6, s[0:1]
	v_lshlrev_b64 v[5:6], 3, v[8:9]
	v_add_co_u32_e64 v85, s[0:1], v0, v5
	v_addc_co_u32_e64 v86, s[0:1], v25, v6, s[0:1]
	global_load_dwordx2 v[5:6], v[23:24], off
	global_load_dwordx2 v[7:8], v[38:39], off
	;; [unrolled: 1-line block ×15, first 2 shown]
                                        ; kill: killed $vgpr56 killed $vgpr57
                                        ; kill: killed $vgpr50 killed $vgpr51
                                        ; kill: killed $vgpr38 killed $vgpr39
                                        ; kill: killed $vgpr52 killed $vgpr53
                                        ; kill: killed $vgpr46 killed $vgpr47
                                        ; kill: killed $vgpr73 killed $vgpr74
                                        ; kill: killed $vgpr48 killed $vgpr49
                                        ; kill: killed $vgpr75 killed $vgpr76
                                        ; kill: killed $vgpr42 killed $vgpr43
                                        ; kill: killed $vgpr69 killed $vgpr70
                                        ; kill: killed $vgpr23 killed $vgpr24
                                        ; kill: killed $vgpr44 killed $vgpr45
                                        ; kill: killed $vgpr71 killed $vgpr72
                                        ; kill: killed $vgpr54 killed $vgpr55
                                        ; kill: killed $vgpr40 killed $vgpr41
	global_load_dwordx2 v[40:41], v[77:78], off
	global_load_dwordx2 v[38:39], v[79:80], off
	;; [unrolled: 1-line block ×5, first 2 shown]
	v_cmp_gt_u32_e64 s[0:1], 22, v59
	v_mov_b32_e32 v23, 0
	v_mov_b32_e32 v24, 0
                                        ; implicit-def: $vgpr55
	s_and_saveexec_b64 s[10:11], s[0:1]
	s_cbranch_execz .LBB0_14
; %bb.13:
	v_add_u32_e32 v50, 0x1b8, v59
	v_mad_u64_u32 v[23:24], s[0:1], s20, v50, 0
	v_add_u32_e32 v52, 0x386, v59
	v_mad_u64_u32 v[48:49], s[0:1], s20, v52, 0
	v_mad_u64_u32 v[50:51], s[0:1], s21, v50, v[24:25]
	v_mov_b32_e32 v24, v50
	v_mad_u64_u32 v[49:50], s[0:1], s21, v52, v[49:50]
	v_lshlrev_b64 v[23:24], 3, v[23:24]
	v_add_co_u32_e64 v50, s[0:1], v0, v23
	v_addc_co_u32_e64 v51, s[0:1], v25, v24, s[0:1]
	v_lshlrev_b64 v[23:24], 3, v[48:49]
	v_add_co_u32_e64 v48, s[0:1], v0, v23
	v_addc_co_u32_e64 v49, s[0:1], v25, v24, s[0:1]
	global_load_dwordx2 v[23:24], v[50:51], off
	global_load_dwordx2 v[55:56], v[48:49], off
.LBB0_14:
	s_or_b64 exec, exec, s[10:11]
.LBB0_15:
	s_or_b64 exec, exec, s[6:7]
	s_waitcnt vmcnt(18)
	v_sub_f32_e32 v49, v5, v7
	v_fma_f32 v48, v5, 2.0, -v49
	v_lshl_add_u32 v74, v59, 3, 0
	s_waitcnt vmcnt(16)
	v_sub_f32_e32 v51, v9, v11
	ds_write_b64 v74, v[48:49]
	s_waitcnt vmcnt(14)
	v_sub_f32_e32 v49, v13, v15
	v_fma_f32 v50, v9, 2.0, -v51
	v_fma_f32 v48, v13, 2.0, -v49
	v_lshl_add_u32 v13, v60, 3, 0
	v_lshl_add_u32 v5, v61, 3, 0
	ds_write_b64 v13, v[50:51]
	ds_write_b64 v5, v[48:49]
	s_waitcnt vmcnt(12)
	v_sub_f32_e32 v49, v17, v19
	v_fma_f32 v48, v17, 2.0, -v49
	v_lshl_add_u32 v9, v62, 3, 0
	ds_write_b64 v9, v[48:49]
	s_waitcnt vmcnt(10)
	v_sub_f32_e32 v49, v21, v28
	v_fma_f32 v48, v21, 2.0, -v49
	v_lshl_add_u32 v11, v63, 3, 0
	ds_write_b64 v11, v[48:49]
	s_waitcnt vmcnt(8)
	v_sub_f32_e32 v49, v26, v32
	v_fma_f32 v48, v26, 2.0, -v49
	s_waitcnt vmcnt(6)
	v_sub_f32_e32 v26, v30, v36
	v_lshl_add_u32 v17, v64, 3, 0
	v_fma_f32 v25, v30, 2.0, -v26
	v_lshl_add_u32 v71, v65, 3, 0
	ds_write_b64 v17, v[48:49]
	ds_write_b64 v71, v[25:26]
	s_waitcnt vmcnt(4)
	v_sub_f32_e32 v26, v34, v40
	v_fma_f32 v25, v34, 2.0, -v26
	v_lshl_add_u32 v73, v66, 3, 0
	ds_write_b64 v73, v[25:26]
	s_waitcnt vmcnt(2)
	v_sub_f32_e32 v26, v38, v44
	v_fma_f32 v25, v38, 2.0, -v26
	v_lshl_add_u32 v19, v67, 3, 0
	;; [unrolled: 5-line block ×3, first 2 shown]
	ds_write_b64 v72, v[25:26]
	v_sub_f32_e32 v26, v23, v55
	v_fma_f32 v25, v23, 2.0, -v26
	v_add_u32_e32 v23, 0x1b8, v59
	v_cmp_gt_u32_e64 s[0:1], 22, v59
	v_lshl_add_u32 v15, v23, 3, 0
	s_and_saveexec_b64 s[6:7], s[0:1]
	s_cbranch_execz .LBB0_17
; %bb.16:
	ds_write_b64 v15, v[25:26]
.LBB0_17:
	s_or_b64 exec, exec, s[6:7]
	v_lshl_add_u32 v0, v59, 2, 0
	v_add_u32_e32 v7, 0x400, v0
	s_waitcnt lgkmcnt(0)
	; wave barrier
	s_waitcnt lgkmcnt(0)
	ds_read2_b32 v[48:49], v7 offset0:206 offset1:250
	v_lshlrev_b32_e32 v7, 2, v61
	v_add_u32_e32 v28, 0x800, v0
	v_lshlrev_b32_e32 v21, 2, v62
	v_lshlrev_b32_e32 v32, 2, v63
	;; [unrolled: 1-line block ×5, first 2 shown]
	v_sub_u32_e32 v34, v5, v7
	ds_read2_b32 v[50:51], v28 offset0:38 offset1:82
	v_sub_u32_e32 v36, v9, v21
	v_sub_u32_e32 v38, v11, v32
	ds_read2_b32 v[52:53], v28 offset0:126 offset1:170
	v_sub_u32_e32 v40, v17, v75
	v_sub_u32_e32 v42, v71, v76
	v_add_u32_e32 v28, 0xa00, v0
	v_sub_u32_e32 v44, v73, v77
	v_lshl_add_u32 v46, v60, 2, 0
	ds_read2_b32 v[54:55], v28 offset0:86 offset1:130
	ds_read_b32 v28, v0
	ds_read_b32 v30, v46
	;; [unrolled: 1-line block ×8, first 2 shown]
	v_lshlrev_b32_e32 v78, 2, v67
	v_lshlrev_b32_e32 v79, 2, v68
	v_sub_u32_e32 v69, v19, v78
	v_add_u32_e32 v57, 0xc00, v0
	v_sub_u32_e32 v70, v72, v79
	ds_read2_b32 v[57:58], v57 offset0:46 offset1:90
	ds_read_b32 v69, v69
	ds_read_b32 v70, v70
	s_and_saveexec_b64 s[6:7], s[0:1]
	s_cbranch_execz .LBB0_19
; %bb.18:
	ds_read_b32 v25, v0 offset:1760
	ds_read_b32 v26, v0 offset:3608
.LBB0_19:
	s_or_b64 exec, exec, s[6:7]
	v_sub_u32_e32 v82, 0, v76
	v_sub_f32_e32 v76, v6, v8
	v_sub_f32_e32 v8, v24, v56
	v_sub_u32_e32 v84, 0, v7
	v_sub_u32_e32 v21, 0, v21
	;; [unrolled: 1-line block ×7, first 2 shown]
	v_fma_f32 v75, v6, 2.0, -v76
	v_sub_f32_e32 v78, v10, v12
	v_sub_f32_e32 v86, v14, v16
	;; [unrolled: 1-line block ×9, first 2 shown]
	v_fma_f32 v7, v24, 2.0, -v8
	v_fma_f32 v77, v10, 2.0, -v78
	v_fma_f32 v85, v14, 2.0, -v86
	v_fma_f32 v87, v18, 2.0, -v88
	v_fma_f32 v89, v22, 2.0, -v90
	v_fma_f32 v91, v27, 2.0, -v92
	v_fma_f32 v93, v31, 2.0, -v94
	v_fma_f32 v95, v35, 2.0, -v96
	v_fma_f32 v97, v39, 2.0, -v98
	v_fma_f32 v99, v43, 2.0, -v100
	s_waitcnt lgkmcnt(0)
	; wave barrier
	s_waitcnt lgkmcnt(0)
	ds_write_b64 v74, v[75:76]
	ds_write_b64 v13, v[77:78]
	;; [unrolled: 1-line block ×10, first 2 shown]
	s_and_saveexec_b64 s[6:7], s[0:1]
	s_cbranch_execz .LBB0_21
; %bb.20:
	ds_write_b64 v15, v[7:8]
.LBB0_21:
	s_or_b64 exec, exec, s[6:7]
	v_add_u32_e32 v10, 0x400, v0
	s_waitcnt lgkmcnt(0)
	; wave barrier
	s_waitcnt lgkmcnt(0)
	ds_read2_b32 v[15:16], v10 offset0:206 offset1:250
	v_add_u32_e32 v10, 0x800, v0
	v_add_u32_e32 v31, v11, v83
	;; [unrolled: 1-line block ×4, first 2 shown]
	ds_read2_b32 v[13:14], v10 offset0:38 offset1:82
	v_add_u32_e32 v21, v9, v21
	ds_read2_b32 v[9:10], v10 offset0:126 offset1:170
	v_add_u32_e32 v32, v17, v32
	v_add_u32_e32 v22, v71, v82
	ds_read2_b32 v[11:12], v11 offset0:86 offset1:130
	v_add_u32_e32 v35, v73, v81
	ds_read_b32 v71, v0
	ds_read_b32 v56, v46
	;; [unrolled: 1-line block ×8, first 2 shown]
	v_add_u32_e32 v19, v19, v80
	v_add_u32_e32 v17, 0xc00, v0
	ds_read2_b32 v[17:18], v17 offset0:46 offset1:90
	v_add_u32_e32 v27, v72, v79
	ds_read_b32 v45, v19
	ds_read_b32 v41, v27
	v_lshlrev_b32_e32 v6, 1, v59
	v_lshlrev_b32_e32 v74, 1, v60
	;; [unrolled: 1-line block ×10, first 2 shown]
	s_and_saveexec_b64 s[6:7], s[0:1]
	s_cbranch_execz .LBB0_23
; %bb.22:
	ds_read_b32 v7, v0 offset:1760
	ds_read_b32 v8, v0 offset:3608
.LBB0_23:
	s_or_b64 exec, exec, s[6:7]
	v_and_b32_e32 v37, 1, v59
	v_lshlrev_b32_e32 v19, 3, v37
	global_load_dwordx2 v[19:20], v19, s[8:9]
	s_movk_i32 s6, 0x7c
	s_movk_i32 s7, 0xfc
	;; [unrolled: 1-line block ×5, first 2 shown]
	v_and_or_b32 v6, v6, s6, v37
	v_and_or_b32 v68, v74, s7, v37
	;; [unrolled: 1-line block ×10, first 2 shown]
	v_lshl_add_u32 v66, v6, 2, 0
	v_lshl_add_u32 v67, v68, 2, 0
	;; [unrolled: 1-line block ×10, first 2 shown]
	s_waitcnt lgkmcnt(0)
	; wave barrier
	s_waitcnt vmcnt(0) lgkmcnt(0)
	v_mul_f32_e32 v6, v15, v20
	v_mul_f32_e32 v83, v10, v20
	;; [unrolled: 1-line block ×10, first 2 shown]
	v_fma_f32 v6, v48, v19, -v6
	v_fma_f32 v83, v53, v19, -v83
	v_mul_f32_e32 v88, v8, v20
	v_fma_f32 v79, v49, v19, -v79
	v_fma_f32 v80, v50, v19, -v80
	;; [unrolled: 1-line block ×8, first 2 shown]
	v_sub_f32_e32 v89, v28, v6
	v_sub_f32_e32 v83, v40, v83
	v_fma_f32 v88, v26, v19, -v88
	v_sub_f32_e32 v79, v30, v79
	v_sub_f32_e32 v80, v34, v80
	;; [unrolled: 1-line block ×8, first 2 shown]
	v_fma_f32 v28, v28, 2.0, -v89
	v_fma_f32 v40, v40, 2.0, -v83
	v_sub_f32_e32 v6, v25, v88
	v_fma_f32 v30, v30, 2.0, -v79
	v_fma_f32 v34, v34, 2.0, -v80
	;; [unrolled: 1-line block ×8, first 2 shown]
	ds_write2_b32 v66, v28, v89 offset1:2
	ds_write2_b32 v67, v30, v79 offset1:2
	;; [unrolled: 1-line block ×10, first 2 shown]
	v_lshlrev_b32_e32 v40, 1, v23
	s_and_saveexec_b64 s[6:7], s[0:1]
	s_cbranch_execz .LBB0_25
; %bb.24:
	v_and_or_b32 v23, v40, s10, v37
	v_lshl_add_u32 v23, v23, 2, 0
	v_fma_f32 v25, v25, 2.0, -v6
	ds_write2_b32 v23, v25, v6 offset1:2
.LBB0_25:
	s_or_b64 exec, exec, s[6:7]
	v_mul_f32_e32 v23, v48, v20
	v_fmac_f32_e32 v23, v15, v19
	v_mul_f32_e32 v15, v49, v20
	v_fmac_f32_e32 v15, v16, v19
	;; [unrolled: 2-line block ×10, first 2 shown]
	v_mul_f32_e32 v18, v26, v20
	v_sub_f32_e32 v48, v56, v15
	v_sub_f32_e32 v58, v24, v11
	v_fmac_f32_e32 v18, v8, v19
	v_sub_f32_e32 v42, v71, v23
	v_fma_f32 v49, v56, 2.0, -v48
	v_sub_f32_e32 v52, v39, v14
	v_sub_f32_e32 v54, v33, v9
	;; [unrolled: 1-line block ×3, first 2 shown]
	v_fma_f32 v69, v24, 2.0, -v58
	v_add_u32_e32 v23, 0x800, v0
	v_add_u32_e32 v24, 0x400, v0
	;; [unrolled: 1-line block ×3, first 2 shown]
	v_fma_f32 v44, v71, 2.0, -v42
	v_sub_f32_e32 v50, v47, v16
	v_sub_f32_e32 v51, v43, v13
	v_fma_f32 v53, v39, 2.0, -v52
	v_fma_f32 v55, v33, 2.0, -v54
	;; [unrolled: 1-line block ×3, first 2 shown]
	v_sub_f32_e32 v70, v45, v12
	v_sub_f32_e32 v71, v41, v17
	;; [unrolled: 1-line block ×3, first 2 shown]
	s_waitcnt lgkmcnt(0)
	; wave barrier
	s_waitcnt lgkmcnt(0)
	ds_read_b32 v34, v0
	ds_read_b32 v39, v35
	ds_read2_b32 v[17:18], v23 offset0:104 offset1:148
	ds_read2_b32 v[19:20], v24 offset0:96 offset1:140
	;; [unrolled: 1-line block ×6, first 2 shown]
	ds_read_b32 v33, v5
	ds_read_b32 v30, v21
	;; [unrolled: 1-line block ×6, first 2 shown]
	ds_read_b32 v38, v0 offset:3520
	v_fma_f32 v47, v47, 2.0, -v50
	v_fma_f32 v43, v43, 2.0, -v51
	v_fma_f32 v45, v45, 2.0, -v70
	v_fma_f32 v41, v41, 2.0, -v71
	s_waitcnt lgkmcnt(0)
	; wave barrier
	s_waitcnt lgkmcnt(0)
	ds_write2_b32 v66, v44, v42 offset1:2
	ds_write2_b32 v67, v49, v48 offset1:2
	;; [unrolled: 1-line block ×10, first 2 shown]
	s_and_saveexec_b64 s[6:7], s[0:1]
	s_cbranch_execz .LBB0_27
; %bb.26:
	s_movk_i32 s0, 0x3fc
	v_and_or_b32 v37, v40, s0, v37
	v_fma_f32 v7, v7, 2.0, -v8
	v_lshl_add_u32 v37, v37, 2, 0
	ds_write2_b32 v37, v7, v8 offset1:2
.LBB0_27:
	s_or_b64 exec, exec, s[6:7]
	v_and_b32_e32 v7, 3, v59
	v_lshlrev_b32_e32 v37, 4, v7
	s_waitcnt lgkmcnt(0)
	; wave barrier
	s_waitcnt lgkmcnt(0)
	global_load_dwordx4 v[40:43], v37, s[8:9] offset:16
	ds_read_b32 v57, v0
	ds_read_b32 v35, v35
	ds_read2_b32 v[44:45], v23 offset0:104 offset1:148
	ds_read2_b32 v[47:48], v24 offset0:96 offset1:140
	;; [unrolled: 1-line block ×6, first 2 shown]
	ds_read_b32 v58, v5
	ds_read_b32 v66, v21
	;; [unrolled: 1-line block ×6, first 2 shown]
	ds_read_b32 v37, v0 offset:3520
	s_waitcnt lgkmcnt(0)
	; wave barrier
	s_waitcnt lgkmcnt(0)
	s_movk_i32 s0, 0xab
	s_mov_b32 s10, 0x3f5ff5aa
	s_mov_b32 s11, 0x3f3bfb3b
	;; [unrolled: 1-line block ×4, first 2 shown]
	s_waitcnt vmcnt(0)
	v_mul_f32_e32 v69, v35, v41
	v_mul_f32_e32 v71, v44, v43
	;; [unrolled: 1-line block ×5, first 2 shown]
	v_fma_f32 v39, v39, v40, -v69
	v_fma_f32 v17, v17, v42, -v71
	v_mul_f32_e32 v75, v45, v43
	v_mul_f32_e32 v76, v18, v43
	;; [unrolled: 1-line block ×11, first 2 shown]
	v_fmac_f32_e32 v70, v35, v40
	v_fmac_f32_e32 v72, v44, v42
	v_fma_f32 v35, v38, v42, -v94
	v_add_f32_e32 v38, v39, v17
	v_mul_f32_e32 v73, v47, v41
	v_mul_f32_e32 v74, v19, v41
	;; [unrolled: 1-line block ×12, first 2 shown]
	v_fma_f32 v18, v18, v42, -v75
	v_fmac_f32_e32 v76, v45, v42
	v_fma_f32 v15, v15, v42, -v79
	v_fmac_f32_e32 v80, v49, v42
	;; [unrolled: 2-line block ×5, first 2 shown]
	v_fmac_f32_e32 v43, v37, v42
	v_add_f32_e32 v37, v34, v39
	v_add_f32_e32 v42, v57, v70
	;; [unrolled: 1-line block ×3, first 2 shown]
	v_fmac_f32_e32 v34, -0.5, v38
	v_fma_f32 v19, v19, v40, -v73
	v_fmac_f32_e32 v74, v47, v40
	v_fma_f32 v20, v20, v40, -v77
	v_fmac_f32_e32 v78, v48, v40
	;; [unrolled: 2-line block ×6, first 2 shown]
	v_sub_f32_e32 v40, v70, v72
	v_add_f32_e32 v38, v42, v72
	v_fmac_f32_e32 v57, -0.5, v44
	v_mov_b32_e32 v42, v34
	v_add_f32_e32 v37, v37, v17
	v_fmac_f32_e32 v34, 0xbf5db3d7, v40
	v_fmac_f32_e32 v42, 0x3f5db3d7, v40
	v_sub_f32_e32 v17, v39, v17
	v_mov_b32_e32 v39, v57
	v_add_f32_e32 v40, v19, v18
	v_fmac_f32_e32 v39, 0xbf5db3d7, v17
	v_fmac_f32_e32 v57, 0x3f5db3d7, v17
	v_add_f32_e32 v17, v36, v19
	v_fmac_f32_e32 v36, -0.5, v40
	v_sub_f32_e32 v40, v74, v76
	v_mov_b32_e32 v44, v36
	v_add_f32_e32 v45, v74, v76
	v_fmac_f32_e32 v44, 0x3f5db3d7, v40
	v_fmac_f32_e32 v36, 0xbf5db3d7, v40
	v_add_f32_e32 v40, v68, v74
	v_fmac_f32_e32 v68, -0.5, v45
	v_add_f32_e32 v17, v17, v18
	v_sub_f32_e32 v18, v19, v18
	v_mov_b32_e32 v19, v68
	v_add_f32_e32 v45, v20, v15
	v_fmac_f32_e32 v19, 0xbf5db3d7, v18
	v_fmac_f32_e32 v68, 0x3f5db3d7, v18
	v_add_f32_e32 v18, v33, v20
	v_fmac_f32_e32 v33, -0.5, v45
	v_sub_f32_e32 v45, v78, v80
	v_mov_b32_e32 v47, v33
	v_fmac_f32_e32 v47, 0x3f5db3d7, v45
	v_fmac_f32_e32 v33, 0xbf5db3d7, v45
	v_add_f32_e32 v45, v58, v78
	v_add_f32_e32 v50, v45, v80
	v_add_f32_e32 v45, v78, v80
	v_fmac_f32_e32 v58, -0.5, v45
	v_add_f32_e32 v18, v18, v15
	v_sub_f32_e32 v15, v20, v15
	v_mov_b32_e32 v20, v58
	v_add_f32_e32 v45, v13, v16
	v_fmac_f32_e32 v20, 0xbf5db3d7, v15
	v_fmac_f32_e32 v58, 0x3f5db3d7, v15
	v_add_f32_e32 v15, v30, v13
	v_fmac_f32_e32 v30, -0.5, v45
	v_sub_f32_e32 v45, v82, v84
	v_mov_b32_e32 v48, v30
	v_fmac_f32_e32 v48, 0x3f5db3d7, v45
	v_fmac_f32_e32 v30, 0xbf5db3d7, v45
	v_add_f32_e32 v45, v66, v82
	v_add_f32_e32 v53, v45, v84
	;; [unrolled: 16-line block ×5, first 2 shown]
	v_fmac_f32_e32 v67, -0.5, v41
	v_add_f32_e32 v9, v9, v35
	v_sub_f32_e32 v10, v10, v35
	v_mov_b32_e32 v35, v67
	v_fmac_f32_e32 v35, 0xbf5db3d7, v10
	v_fmac_f32_e32 v67, 0x3f5db3d7, v10
	v_lshrrev_b32_e32 v10, 2, v59
	v_mul_u32_u24_e32 v10, 12, v10
	v_or_b32_e32 v10, v10, v7
	v_lshrrev_b32_e32 v41, 2, v60
	v_mul_lo_u32 v41, v41, 12
	v_lshl_add_u32 v10, v10, 2, 0
	ds_write2_b32 v10, v37, v42 offset1:4
	ds_write_b32 v10, v34 offset:32
	v_lshrrev_b32_e32 v37, 2, v61
	v_mul_lo_u32 v37, v37, 12
	v_or_b32_e32 v34, v41, v7
	v_lshl_add_u32 v34, v34, 2, 0
	ds_write2_b32 v34, v17, v44 offset1:4
	ds_write_b32 v34, v36 offset:32
	v_or_b32_e32 v17, v37, v7
	v_lshrrev_b32_e32 v36, 2, v62
	v_mul_lo_u32 v36, v36, 12
	v_lshl_add_u32 v17, v17, 2, 0
	ds_write2_b32 v17, v18, v47 offset1:4
	ds_write_b32 v17, v33 offset:32
	v_lshrrev_b32_e32 v33, 2, v63
	v_mul_lo_u32 v33, v33, 12
	v_or_b32_e32 v18, v36, v7
	v_lshl_add_u32 v18, v18, 2, 0
	ds_write2_b32 v18, v15, v48 offset1:4
	ds_write_b32 v18, v30 offset:32
	v_or_b32_e32 v15, v33, v7
	v_lshl_add_u32 v15, v15, 2, 0
	v_lshrrev_b32_e32 v30, 2, v64
	ds_write2_b32 v15, v13, v49 offset1:4
	ds_write_b32 v15, v29 offset:32
	v_lshrrev_b32_e32 v29, 2, v65
	v_mul_lo_u32 v30, v30, 12
	v_mul_lo_u32 v29, v29, 12
	v_add_u32_e32 v37, 0x600, v0
	v_add_u32_e32 v62, 0xa00, v0
	v_or_b32_e32 v13, v30, v7
	v_or_b32_e32 v7, v29, v7
	v_lshl_add_u32 v13, v13, 2, 0
	v_lshl_add_u32 v7, v7, 2, 0
	v_add_u32_e32 v63, 0x200, v0
	v_add_f32_e32 v40, v40, v76
	v_add_f32_e32 v56, v45, v43
	ds_write2_b32 v13, v11, v51 offset1:4
	ds_write_b32 v13, v28 offset:32
	ds_write2_b32 v7, v9, v52 offset1:4
	ds_write_b32 v7, v26 offset:32
	s_waitcnt lgkmcnt(0)
	; wave barrier
	s_waitcnt lgkmcnt(0)
	ds_read2_b32 v[48:49], v0 offset1:176
	ds_read_b32 v36, v22
	ds_read_b32 v47, v27
	ds_read2_b32 v[42:43], v37 offset0:100 offset1:144
	ds_read2_b32 v[44:45], v23 offset0:148 offset1:192
	;; [unrolled: 1-line block ×3, first 2 shown]
	ds_read_b32 v107, v46
	ds_read2_b32 v[89:90], v63 offset0:92 offset1:180
	ds_read2_b32 v[91:92], v24 offset0:96 offset1:184
	;; [unrolled: 1-line block ×4, first 2 shown]
	ds_read_b32 v64, v21
	ds_read_b32 v108, v5
	s_waitcnt lgkmcnt(0)
	; wave barrier
	s_waitcnt lgkmcnt(0)
	ds_write2_b32 v10, v38, v39 offset1:4
	ds_write_b32 v10, v57 offset:32
	ds_write2_b32 v34, v40, v19 offset1:4
	ds_write_b32 v34, v68 offset:32
	;; [unrolled: 2-line block ×7, first 2 shown]
	v_mul_lo_u16_sdwa v7, v59, s0 dst_sel:DWORD dst_unused:UNUSED_PAD src0_sel:BYTE_0 src1_sel:DWORD
	v_lshrrev_b16_e32 v109, 11, v7
	v_mul_lo_u16_e32 v7, 12, v109
	v_sub_u16_e32 v110, v59, v7
	v_mov_b32_e32 v7, 6
	v_mul_u32_u24_sdwa v9, v110, v7 dst_sel:DWORD dst_unused:UNUSED_PAD src0_sel:BYTE_0 src1_sel:DWORD
	v_lshlrev_b32_e32 v17, 3, v9
	s_waitcnt lgkmcnt(0)
	; wave barrier
	s_waitcnt lgkmcnt(0)
	global_load_dwordx4 v[9:12], v17, s[8:9] offset:80
	global_load_dwordx4 v[13:16], v17, s[8:9] offset:96
	;; [unrolled: 1-line block ×3, first 2 shown]
	v_mul_lo_u16_sdwa v17, v60, s0 dst_sel:DWORD dst_unused:UNUSED_PAD src0_sel:BYTE_0 src1_sel:DWORD
	v_lshrrev_b16_e32 v111, 11, v17
	v_mul_lo_u16_e32 v17, 12, v111
	v_sub_u16_e32 v112, v60, v17
	v_mul_u32_u24_sdwa v17, v112, v7 dst_sel:DWORD dst_unused:UNUSED_PAD src0_sel:BYTE_0 src1_sel:DWORD
	v_lshlrev_b32_e32 v17, 3, v17
	global_load_dwordx4 v[32:35], v17, s[8:9] offset:80
	global_load_dwordx4 v[38:41], v17, s[8:9] offset:96
	;; [unrolled: 1-line block ×3, first 2 shown]
	v_mul_lo_u16_sdwa v17, v61, s0 dst_sel:DWORD dst_unused:UNUSED_PAD src0_sel:BYTE_0 src1_sel:DWORD
	v_lshrrev_b16_e32 v113, 11, v17
	v_mul_lo_u16_e32 v17, 12, v113
	v_sub_u16_e32 v114, v61, v17
	v_mul_u32_u24_sdwa v7, v114, v7 dst_sel:DWORD dst_unused:UNUSED_PAD src0_sel:BYTE_0 src1_sel:DWORD
	v_lshlrev_b32_e32 v7, 3, v7
	global_load_dwordx4 v[77:80], v7, s[8:9] offset:80
	global_load_dwordx4 v[81:84], v7, s[8:9] offset:96
	;; [unrolled: 1-line block ×3, first 2 shown]
	ds_read2_b32 v[17:18], v0 offset1:176
	ds_read_b32 v20, v22
	ds_read_b32 v22, v27
	ds_read2_b32 v[26:27], v37 offset0:100 offset1:144
	ds_read2_b32 v[56:57], v23 offset0:148 offset1:192
	ds_read2_b32 v[97:98], v62 offset0:108 offset1:152
	ds_read_b32 v19, v46
	ds_read2_b32 v[99:100], v63 offset0:92 offset1:180
	ds_read_b32 v21, v21
	ds_read2_b32 v[101:102], v24 offset0:96 offset1:184
	ds_read2_b32 v[103:104], v23 offset0:60 offset1:104
	;; [unrolled: 1-line block ×3, first 2 shown]
	ds_read_b32 v7, v5
	s_waitcnt lgkmcnt(0)
	; wave barrier
	s_waitcnt lgkmcnt(0)
	v_cmp_gt_u32_e64 s[0:1], 40, v59
	s_waitcnt vmcnt(8)
	v_mul_f32_e32 v5, v21, v10
	v_fma_f32 v58, v64, v9, -v5
	v_mul_f32_e32 v5, v20, v12
	v_fma_f32 v63, v36, v11, -v5
	s_waitcnt vmcnt(7)
	v_mul_f32_e32 v5, v22, v14
	v_fma_f32 v65, v47, v13, -v5
	v_mul_f32_e32 v5, v27, v16
	v_fma_f32 v67, v43, v15, -v5
	;; [unrolled: 5-line block ×3, first 2 shown]
	s_waitcnt vmcnt(5)
	v_mul_f32_e32 v5, v18, v33
	v_mul_f32_e32 v68, v43, v16
	;; [unrolled: 1-line block ×3, first 2 shown]
	v_fma_f32 v43, v49, v32, -v5
	v_mul_f32_e32 v44, v49, v33
	v_mul_f32_e32 v5, v100, v35
	v_fmac_f32_e32 v44, v18, v32
	v_fma_f32 v18, v90, v34, -v5
	s_waitcnt vmcnt(4)
	v_mul_f32_e32 v5, v102, v39
	v_fma_f32 v50, v92, v38, -v5
	v_mul_f32_e32 v5, v103, v41
	v_fma_f32 v53, v93, v40, -v5
	s_waitcnt vmcnt(3)
	v_mul_f32_e32 v5, v57, v74
	v_fmac_f32_e32 v70, v56, v28
	v_fma_f32 v55, v45, v73, -v5
	v_mul_f32_e32 v56, v45, v74
	v_mul_f32_e32 v5, v105, v76
	;; [unrolled: 1-line block ×4, first 2 shown]
	v_fmac_f32_e32 v56, v57, v73
	v_fma_f32 v57, v95, v75, -v5
	s_waitcnt vmcnt(2)
	v_mul_f32_e32 v5, v99, v78
	v_fmac_f32_e32 v64, v20, v11
	v_mul_f32_e32 v66, v47, v14
	v_fma_f32 v20, v89, v77, -v5
	v_mul_f32_e32 v5, v101, v80
	v_fmac_f32_e32 v66, v22, v13
	v_fma_f32 v22, v91, v79, -v5
	s_waitcnt vmcnt(1)
	v_mul_f32_e32 v5, v26, v82
	v_fma_f32 v28, v42, v81, -v5
	v_mul_f32_e32 v5, v104, v84
	v_mul_f32_e32 v72, v52, v31
	;; [unrolled: 1-line block ×3, first 2 shown]
	v_fma_f32 v39, v94, v83, -v5
	s_waitcnt vmcnt(0)
	v_mul_f32_e32 v5, v97, v86
	v_mul_f32_e32 v54, v93, v41
	v_fma_f32 v41, v51, v85, -v5
	v_mul_f32_e32 v5, v106, v88
	v_fma_f32 v49, v96, v87, -v5
	v_add_f32_e32 v5, v58, v71
	v_add_f32_e32 v10, v63, v69
	v_fmac_f32_e32 v68, v27, v15
	v_add_f32_e32 v12, v65, v67
	v_add_f32_e32 v14, v10, v5
	v_fmac_f32_e32 v62, v21, v9
	v_fmac_f32_e32 v72, v98, v30
	;; [unrolled: 1-line block ×3, first 2 shown]
	v_mul_f32_e32 v38, v42, v82
	v_sub_f32_e32 v11, v64, v70
	v_sub_f32_e32 v13, v68, v66
	;; [unrolled: 1-line block ×5, first 2 shown]
	v_add_f32_e32 v12, v12, v14
	v_fmac_f32_e32 v38, v26, v81
	v_sub_f32_e32 v9, v62, v72
	v_add_f32_e32 v16, v13, v11
	v_sub_f32_e32 v25, v13, v11
	v_add_f32_e32 v26, v48, v12
	v_sub_f32_e32 v13, v9, v13
	v_sub_f32_e32 v11, v11, v9
	v_add_f32_e32 v9, v16, v9
	v_mul_f32_e32 v5, 0x3f4a47b2, v5
	v_mul_f32_e32 v14, 0x3d64c772, v10
	;; [unrolled: 1-line block ×3, first 2 shown]
	v_mov_b32_e32 v29, v26
	v_fmac_f32_e32 v29, 0xbf955555, v12
	v_fma_f32 v12, v15, s11, -v14
	v_fma_f32 v14, v15, s12, -v5
	v_fmac_f32_e32 v5, 0x3d64c772, v10
	v_fma_f32 v10, v11, s10, -v16
	v_fmac_f32_e32 v16, 0x3eae86e6, v13
	v_mul_f32_e32 v25, 0x3f5ff5aa, v11
	v_add_f32_e32 v5, v5, v29
	v_add_f32_e32 v12, v12, v29
	v_fmac_f32_e32 v16, 0x3ee1c552, v9
	v_fmac_f32_e32 v10, 0x3ee1c552, v9
	v_mul_f32_e32 v47, v90, v35
	v_fma_f32 v11, v13, s13, -v25
	v_add_f32_e32 v25, v16, v5
	v_sub_f32_e32 v30, v12, v10
	v_add_f32_e32 v31, v10, v12
	v_sub_f32_e32 v33, v5, v16
	v_add_f32_e32 v5, v43, v57
	v_add_f32_e32 v10, v18, v55
	v_fmac_f32_e32 v47, v100, v34
	v_fmac_f32_e32 v54, v103, v40
	v_mul_f32_e32 v61, v95, v76
	v_add_f32_e32 v13, v14, v29
	v_fmac_f32_e32 v11, 0x3ee1c552, v9
	v_add_f32_e32 v12, v50, v53
	v_add_f32_e32 v14, v10, v5
	v_fmac_f32_e32 v61, v105, v75
	v_add_f32_e32 v29, v11, v13
	v_sub_f32_e32 v32, v13, v11
	v_sub_f32_e32 v11, v47, v56
	;; [unrolled: 1-line block ×6, first 2 shown]
	v_add_f32_e32 v12, v12, v14
	v_sub_f32_e32 v9, v44, v61
	v_add_f32_e32 v16, v13, v11
	v_sub_f32_e32 v34, v13, v11
	;; [unrolled: 2-line block ×3, first 2 shown]
	v_sub_f32_e32 v11, v11, v9
	v_add_f32_e32 v9, v16, v9
	v_mul_f32_e32 v5, 0x3f4a47b2, v5
	v_mul_f32_e32 v14, 0x3d64c772, v10
	;; [unrolled: 1-line block ×3, first 2 shown]
	v_mov_b32_e32 v36, v35
	v_mul_f32_e32 v34, 0x3f5ff5aa, v11
	v_fmac_f32_e32 v36, 0xbf955555, v12
	v_fma_f32 v12, v15, s11, -v14
	v_fma_f32 v14, v15, s12, -v5
	v_fmac_f32_e32 v5, 0x3d64c772, v10
	v_fma_f32 v10, v11, s10, -v16
	v_fmac_f32_e32 v16, 0x3eae86e6, v13
	v_mul_f32_e32 v27, v91, v80
	v_mul_f32_e32 v40, v94, v84
	;; [unrolled: 1-line block ×3, first 2 shown]
	v_fma_f32 v11, v13, s13, -v34
	v_add_f32_e32 v5, v5, v36
	v_add_f32_e32 v12, v12, v36
	v_fmac_f32_e32 v16, 0x3ee1c552, v9
	v_fmac_f32_e32 v10, 0x3ee1c552, v9
	v_mul_f32_e32 v21, v89, v78
	v_fmac_f32_e32 v27, v101, v79
	v_fmac_f32_e32 v40, v104, v83
	;; [unrolled: 1-line block ×3, first 2 shown]
	v_mul_f32_e32 v51, v96, v88
	v_add_f32_e32 v13, v14, v36
	v_fmac_f32_e32 v11, 0x3ee1c552, v9
	v_add_f32_e32 v34, v16, v5
	v_sub_f32_e32 v48, v12, v10
	v_add_f32_e32 v45, v10, v12
	v_sub_f32_e32 v10, v5, v16
	v_add_f32_e32 v5, v20, v49
	v_add_f32_e32 v12, v22, v41
	v_fmac_f32_e32 v21, v99, v77
	v_fmac_f32_e32 v51, v106, v87
	v_add_f32_e32 v36, v11, v13
	v_sub_f32_e32 v9, v13, v11
	v_sub_f32_e32 v13, v27, v42
	v_add_f32_e32 v14, v28, v39
	v_sub_f32_e32 v15, v40, v38
	v_add_f32_e32 v16, v12, v5
	v_sub_f32_e32 v11, v21, v51
	v_sub_f32_e32 v73, v12, v5
	;; [unrolled: 1-line block ×4, first 2 shown]
	v_add_f32_e32 v74, v15, v13
	v_add_f32_e32 v14, v14, v16
	v_sub_f32_e32 v75, v15, v13
	v_sub_f32_e32 v15, v11, v15
	;; [unrolled: 1-line block ×3, first 2 shown]
	v_add_f32_e32 v16, v74, v11
	v_add_f32_e32 v11, v108, v14
	v_mul_f32_e32 v5, 0x3f4a47b2, v5
	v_mul_f32_e32 v74, 0x3d64c772, v12
	;; [unrolled: 1-line block ×3, first 2 shown]
	v_mov_b32_e32 v77, v11
	v_mul_f32_e32 v76, 0x3f5ff5aa, v13
	v_fmac_f32_e32 v77, 0xbf955555, v14
	v_fma_f32 v14, v73, s11, -v74
	v_fma_f32 v73, v73, s12, -v5
	v_fmac_f32_e32 v5, 0x3d64c772, v12
	v_fma_f32 v74, v13, s10, -v75
	v_fmac_f32_e32 v75, 0x3eae86e6, v15
	v_fma_f32 v76, v15, s13, -v76
	v_add_f32_e32 v5, v5, v77
	v_fmac_f32_e32 v75, 0x3ee1c552, v16
	v_add_f32_e32 v15, v14, v77
	v_add_f32_e32 v73, v73, v77
	v_fmac_f32_e32 v74, 0x3ee1c552, v16
	v_fmac_f32_e32 v76, 0x3ee1c552, v16
	v_add_f32_e32 v12, v75, v5
	v_sub_f32_e32 v5, v5, v75
	v_mov_b32_e32 v75, 2
	v_add_f32_e32 v13, v76, v73
	v_sub_f32_e32 v14, v15, v74
	v_add_f32_e32 v15, v74, v15
	v_sub_f32_e32 v16, v73, v76
	v_mul_u32_u24_e32 v73, 0x150, v109
	v_lshlrev_b32_sdwa v74, v75, v110 dst_sel:DWORD dst_unused:UNUSED_PAD src0_sel:DWORD src1_sel:BYTE_0
	v_add3_u32 v73, 0, v73, v74
	ds_write2_b32 v73, v26, v25 offset1:12
	ds_write2_b32 v73, v29, v30 offset0:24 offset1:36
	ds_write2_b32 v73, v31, v32 offset0:48 offset1:60
	ds_write_b32 v73, v33 offset:288
	v_mul_u32_u24_e32 v25, 0x150, v111
	v_lshlrev_b32_sdwa v26, v75, v112 dst_sel:DWORD dst_unused:UNUSED_PAD src0_sel:DWORD src1_sel:BYTE_0
	v_add3_u32 v74, 0, v25, v26
	v_mul_u32_u24_e32 v25, 0x150, v113
	v_lshlrev_b32_sdwa v26, v75, v114 dst_sel:DWORD dst_unused:UNUSED_PAD src0_sel:DWORD src1_sel:BYTE_0
	v_add3_u32 v75, 0, v25, v26
	ds_write2_b32 v74, v35, v34 offset1:12
	ds_write2_b32 v74, v36, v48 offset0:24 offset1:36
	ds_write2_b32 v74, v45, v9 offset0:48 offset1:60
	ds_write_b32 v74, v10 offset:288
	ds_write2_b32 v75, v11, v12 offset1:12
	ds_write2_b32 v75, v13, v14 offset0:24 offset1:36
	ds_write2_b32 v75, v15, v16 offset0:48 offset1:60
	ds_write_b32 v75, v5 offset:288
	s_waitcnt lgkmcnt(0)
	; wave barrier
	s_waitcnt lgkmcnt(0)
	ds_read2_b32 v[25:26], v0 offset1:84
	ds_read2_b32 v[33:34], v0 offset0:168 offset1:252
	ds_read2_b32 v[29:30], v24 offset0:80 offset1:164
	;; [unrolled: 1-line block ×4, first 2 shown]
	ds_read_b32 v48, v0 offset:3360
	s_and_saveexec_b64 s[6:7], s[0:1]
	s_cbranch_execz .LBB0_29
; %bb.28:
	v_add_u32_e32 v5, 0x400, v0
	ds_read_b32 v45, v46
	ds_read2_b32 v[9:10], v0 offset0:128 offset1:212
	ds_read2_b32 v[11:12], v5 offset0:40 offset1:124
	;; [unrolled: 1-line block ×3, first 2 shown]
	v_add_u32_e32 v5, 0x800, v0
	ds_read2_b32 v[15:16], v5 offset0:120 offset1:204
	v_add_u32_e32 v5, 0xc00, v0
	ds_read2_b32 v[5:6], v5 offset0:32 offset1:116
.LBB0_29:
	s_or_b64 exec, exec, s[6:7]
	v_add_f32_e32 v23, v62, v72
	v_sub_f32_e32 v24, v58, v71
	v_add_f32_e32 v58, v64, v70
	v_sub_f32_e32 v62, v63, v69
	;; [unrolled: 2-line block ×4, first 2 shown]
	v_sub_f32_e32 v23, v23, v63
	v_sub_f32_e32 v58, v63, v58
	v_add_f32_e32 v63, v63, v65
	v_add_f32_e32 v67, v64, v62
	v_sub_f32_e32 v68, v64, v62
	v_sub_f32_e32 v62, v62, v24
	v_add_f32_e32 v65, v17, v63
	v_sub_f32_e32 v64, v24, v64
	v_add_f32_e32 v24, v67, v24
	v_mul_f32_e32 v17, 0x3f4a47b2, v23
	v_mul_f32_e32 v67, 0xbf08b237, v68
	;; [unrolled: 1-line block ×3, first 2 shown]
	v_mov_b32_e32 v69, v65
	v_mul_f32_e32 v23, 0x3d64c772, v58
	v_fmac_f32_e32 v69, 0xbf955555, v63
	v_fma_f32 v63, v66, s12, -v17
	v_fmac_f32_e32 v17, 0x3d64c772, v58
	v_fma_f32 v58, v62, s10, -v67
	;; [unrolled: 2-line block ×3, first 2 shown]
	v_fma_f32 v23, v66, s11, -v23
	v_add_f32_e32 v17, v17, v69
	v_add_f32_e32 v63, v63, v69
	v_fmac_f32_e32 v67, 0x3ee1c552, v24
	v_fmac_f32_e32 v62, 0x3ee1c552, v24
	v_add_f32_e32 v23, v23, v69
	v_fmac_f32_e32 v58, 0x3ee1c552, v24
	v_sub_f32_e32 v64, v17, v67
	v_sub_f32_e32 v66, v63, v62
	v_add_f32_e32 v62, v62, v63
	v_add_f32_e32 v63, v67, v17
	;; [unrolled: 1-line block ×5, first 2 shown]
	v_sub_f32_e32 v58, v23, v58
	v_sub_f32_e32 v23, v43, v57
	;; [unrolled: 1-line block ×3, first 2 shown]
	v_add_f32_e32 v43, v52, v54
	v_sub_f32_e32 v44, v53, v50
	v_add_f32_e32 v47, v24, v17
	v_sub_f32_e32 v50, v24, v17
	v_sub_f32_e32 v17, v17, v43
	;; [unrolled: 1-line block ×3, first 2 shown]
	v_add_f32_e32 v52, v44, v18
	v_add_f32_e32 v43, v43, v47
	v_sub_f32_e32 v53, v44, v18
	v_sub_f32_e32 v44, v23, v44
	;; [unrolled: 1-line block ×3, first 2 shown]
	v_add_f32_e32 v23, v52, v23
	v_add_f32_e32 v52, v19, v43
	v_mul_f32_e32 v17, 0x3f4a47b2, v17
	v_mul_f32_e32 v19, 0x3d64c772, v24
	;; [unrolled: 1-line block ×4, first 2 shown]
	v_mov_b32_e32 v54, v52
	v_fmac_f32_e32 v54, 0xbf955555, v43
	v_fma_f32 v19, v50, s11, -v19
	v_fma_f32 v43, v50, s12, -v17
	v_fmac_f32_e32 v17, 0x3d64c772, v24
	v_fma_f32 v18, v18, s10, -v53
	v_fma_f32 v24, v44, s13, -v47
	v_fmac_f32_e32 v53, 0x3eae86e6, v44
	v_add_f32_e32 v44, v17, v54
	v_add_f32_e32 v17, v19, v54
	;; [unrolled: 1-line block ×3, first 2 shown]
	v_fmac_f32_e32 v18, 0x3ee1c552, v23
	v_fmac_f32_e32 v24, 0x3ee1c552, v23
	v_sub_f32_e32 v50, v19, v24
	v_add_f32_e32 v54, v18, v17
	v_sub_f32_e32 v47, v17, v18
	v_add_f32_e32 v17, v24, v19
	v_add_f32_e32 v19, v21, v51
	;; [unrolled: 1-line block ×3, first 2 shown]
	v_fmac_f32_e32 v53, 0x3ee1c552, v23
	v_sub_f32_e32 v22, v22, v41
	v_add_f32_e32 v23, v38, v40
	v_sub_f32_e32 v24, v39, v28
	v_add_f32_e32 v27, v21, v19
	v_sub_f32_e32 v20, v20, v49
	v_sub_f32_e32 v28, v21, v19
	;; [unrolled: 1-line block ×4, first 2 shown]
	v_add_f32_e32 v19, v24, v22
	v_add_f32_e32 v23, v23, v27
	v_sub_f32_e32 v39, v24, v22
	v_sub_f32_e32 v24, v20, v24
	;; [unrolled: 1-line block ×3, first 2 shown]
	v_add_f32_e32 v20, v19, v20
	v_add_f32_e32 v19, v7, v23
	v_mul_f32_e32 v7, 0x3f4a47b2, v38
	v_mul_f32_e32 v27, 0x3d64c772, v21
	;; [unrolled: 1-line block ×4, first 2 shown]
	v_mov_b32_e32 v40, v19
	v_fmac_f32_e32 v40, 0xbf955555, v23
	v_fma_f32 v23, v28, s11, -v27
	v_fma_f32 v27, v28, s12, -v7
	v_fmac_f32_e32 v7, 0x3d64c772, v21
	v_fma_f32 v28, v22, s10, -v38
	v_fmac_f32_e32 v38, 0x3eae86e6, v24
	v_fma_f32 v24, v24, s13, -v39
	v_add_f32_e32 v7, v7, v40
	v_add_f32_e32 v23, v23, v40
	v_add_f32_e32 v27, v27, v40
	v_fmac_f32_e32 v38, 0x3ee1c552, v20
	v_fmac_f32_e32 v28, 0x3ee1c552, v20
	;; [unrolled: 1-line block ×3, first 2 shown]
	v_sub_f32_e32 v43, v44, v53
	v_add_f32_e32 v18, v53, v44
	v_sub_f32_e32 v20, v7, v38
	v_sub_f32_e32 v21, v27, v24
	v_add_f32_e32 v22, v28, v23
	v_sub_f32_e32 v23, v23, v28
	v_add_f32_e32 v24, v24, v27
	v_add_f32_e32 v7, v38, v7
	s_waitcnt lgkmcnt(0)
	; wave barrier
	s_waitcnt lgkmcnt(0)
	ds_write2_b32 v73, v65, v64 offset1:12
	ds_write2_b32 v73, v66, v68 offset0:24 offset1:36
	ds_write2_b32 v73, v58, v62 offset0:48 offset1:60
	ds_write_b32 v73, v63 offset:288
	ds_write2_b32 v74, v52, v43 offset1:12
	ds_write2_b32 v74, v50, v54 offset0:24 offset1:36
	ds_write2_b32 v74, v47, v17 offset0:48 offset1:60
	ds_write_b32 v74, v18 offset:288
	;; [unrolled: 4-line block ×3, first 2 shown]
	v_add_u32_e32 v51, 0x400, v0
	v_add_u32_e32 v50, 0x800, v0
	s_waitcnt lgkmcnt(0)
	; wave barrier
	s_waitcnt lgkmcnt(0)
	ds_read2_b32 v[27:28], v0 offset1:84
	ds_read2_b32 v[41:42], v0 offset0:168 offset1:252
	ds_read2_b32 v[39:40], v51 offset0:80 offset1:164
	ds_read2_b32 v[37:38], v37 offset0:120 offset1:204
	ds_read2_b32 v[43:44], v50 offset0:160 offset1:244
	ds_read_b32 v49, v0 offset:3360
	s_and_saveexec_b64 s[6:7], s[0:1]
	s_cbranch_execz .LBB0_31
; %bb.30:
	ds_read_b32 v47, v46
	ds_read2_b32 v[17:18], v0 offset0:128 offset1:212
	ds_read2_b32 v[19:20], v51 offset0:40 offset1:124
	v_add_u32_e32 v7, 0x600, v0
	v_add_u32_e32 v0, 0xc00, v0
	ds_read2_b32 v[21:22], v7 offset0:80 offset1:164
	ds_read2_b32 v[23:24], v50 offset0:120 offset1:204
	ds_read2_b32 v[7:8], v0 offset0:32 offset1:116
.LBB0_31:
	s_or_b64 exec, exec, s[6:7]
	s_and_saveexec_b64 s[6:7], vcc
	s_cbranch_execz .LBB0_34
; %bb.32:
	v_mul_u32_u24_e32 v0, 10, v59
	v_lshlrev_b32_e32 v0, 3, v0
	global_load_dwordx4 v[50:53], v0, s[8:9] offset:720
	global_load_dwordx4 v[54:57], v0, s[8:9] offset:656
	global_load_dwordx4 v[61:64], v0, s[8:9] offset:704
	global_load_dwordx4 v[65:68], v0, s[8:9] offset:672
	global_load_dwordx4 v[69:72], v0, s[8:9] offset:688
	v_mul_lo_u32 v0, s5, v3
	v_mul_lo_u32 v4, s4, v4
	v_mad_u64_u32 v[73:74], s[4:5], s4, v3, 0
	s_mov_b32 s10, 0xbf75a155
	s_mov_b32 s6, 0x3f575c64
	v_add3_u32 v74, v74, v4, v0
	s_mov_b32 s7, 0xbf27a4f4
	s_mov_b32 s5, 0x3ed4b147
	;; [unrolled: 1-line block ×4, first 2 shown]
	s_waitcnt vmcnt(4) lgkmcnt(0)
	v_mul_f32_e32 v0, v49, v52
	s_waitcnt vmcnt(3)
	v_mul_f32_e32 v46, v28, v54
	v_mul_f32_e32 v3, v28, v55
	;; [unrolled: 1-line block ×4, first 2 shown]
	v_fmac_f32_e32 v0, v48, v53
	v_fmac_f32_e32 v46, v26, v55
	v_mul_f32_e32 v4, v49, v53
	v_mul_f32_e32 v28, v41, v57
	;; [unrolled: 1-line block ×3, first 2 shown]
	s_waitcnt vmcnt(2)
	v_mul_f32_e32 v44, v43, v63
	s_waitcnt vmcnt(1)
	v_mul_f32_e32 v76, v42, v65
	v_mul_f32_e32 v42, v42, v66
	v_mul_f32_e32 v78, v39, v67
	v_mul_f32_e32 v39, v39, v68
	v_fma_f32 v53, v26, v54, -v3
	v_fmac_f32_e32 v58, v36, v51
	v_fmac_f32_e32 v75, v33, v57
	v_add_f32_e32 v26, v0, v46
	v_mul_f32_e32 v43, v43, v64
	v_mul_f32_e32 v77, v38, v61
	v_fma_f32 v54, v48, v52, -v4
	v_fma_f32 v55, v36, v50, -v41
	v_fmac_f32_e32 v44, v35, v64
	v_fmac_f32_e32 v76, v34, v66
	v_fma_f32 v50, v34, v65, -v42
	v_fma_f32 v52, v29, v67, -v39
	v_add_f32_e32 v34, v58, v75
	v_mul_f32_e32 v67, 0x3f575c64, v26
	v_mul_f32_e32 v38, v38, v62
	s_waitcnt vmcnt(0)
	v_mul_f32_e32 v79, v37, v71
	v_mul_f32_e32 v80, v40, v69
	;; [unrolled: 1-line block ×3, first 2 shown]
	v_fma_f32 v51, v33, v56, -v28
	v_fma_f32 v56, v35, v63, -v43
	v_fmac_f32_e32 v77, v32, v62
	v_fmac_f32_e32 v78, v29, v68
	v_sub_f32_e32 v48, v53, v54
	v_add_f32_e32 v35, v44, v76
	v_mul_f32_e32 v68, 0x3ed4b147, v34
	v_mov_b32_e32 v3, v67
	v_mul_f32_e32 v37, v37, v72
	v_fma_f32 v57, v32, v61, -v38
	v_fmac_f32_e32 v79, v31, v72
	v_fmac_f32_e32 v80, v30, v70
	v_fma_f32 v61, v30, v69, -v40
	v_sub_f32_e32 v49, v51, v55
	v_add_f32_e32 v36, v77, v78
	v_mul_f32_e32 v69, 0xbe11bafb, v35
	v_mov_b32_e32 v4, v68
	v_fmac_f32_e32 v3, 0x3f0a6770, v48
	v_fma_f32 v62, v31, v71, -v37
	v_sub_f32_e32 v63, v50, v56
	v_add_f32_e32 v37, v79, v80
	v_mul_f32_e32 v70, 0xbf27a4f4, v36
	v_mov_b32_e32 v28, v69
	v_fmac_f32_e32 v4, 0x3f68dda4, v49
	v_add_f32_e32 v3, v27, v3
	v_sub_f32_e32 v64, v52, v57
	v_sub_f32_e32 v38, v46, v0
	v_mul_f32_e32 v71, 0xbf75a155, v37
	v_mov_b32_e32 v29, v70
	v_fmac_f32_e32 v28, 0x3f7d64f0, v63
	v_add_f32_e32 v3, v3, v4
	v_sub_f32_e32 v65, v61, v62
	v_mul_f32_e32 v72, 0xbf0a6770, v38
	v_mov_b32_e32 v30, v71
	v_fmac_f32_e32 v29, 0x3f4178ce, v64
	v_add_f32_e32 v3, v3, v28
	v_sub_f32_e32 v39, v75, v58
	v_add_f32_e32 v66, v54, v53
	v_mov_b32_e32 v31, v72
	v_fmac_f32_e32 v30, 0x3e903f40, v65
	v_add_f32_e32 v3, v3, v29
	v_mul_f32_e32 v82, 0xbf68dda4, v39
	v_sub_f32_e32 v40, v76, v44
	v_fmac_f32_e32 v31, 0x3f575c64, v66
	v_add_f32_e32 v4, v3, v30
	v_add_f32_e32 v81, v55, v51
	v_mov_b32_e32 v3, v82
	v_mul_f32_e32 v84, 0xbf7d64f0, v40
	v_add_f32_e32 v31, v25, v31
	v_fmac_f32_e32 v3, 0x3ed4b147, v81
	v_add_f32_e32 v83, v56, v50
	v_mov_b32_e32 v28, v84
	v_sub_f32_e32 v41, v78, v77
	v_add_f32_e32 v3, v31, v3
	v_fmac_f32_e32 v28, 0xbe11bafb, v83
	v_mul_f32_e32 v86, 0xbf4178ce, v41
	v_add_f32_e32 v3, v3, v28
	v_add_f32_e32 v85, v57, v52
	v_mov_b32_e32 v28, v86
	v_sub_f32_e32 v42, v80, v79
	v_fmac_f32_e32 v28, 0xbf27a4f4, v85
	v_mul_f32_e32 v88, 0xbe903f40, v42
	v_add_f32_e32 v3, v3, v28
	v_add_f32_e32 v87, v62, v61
	v_mov_b32_e32 v28, v88
	v_fmac_f32_e32 v28, 0xbf75a155, v87
	v_mul_f32_e32 v43, 0x3ed4b147, v26
	v_add_f32_e32 v3, v3, v28
	v_mov_b32_e32 v28, v43
	v_mul_f32_e32 v89, 0xbf27a4f4, v34
	v_fmac_f32_e32 v28, 0x3f68dda4, v48
	v_mov_b32_e32 v29, v89
	v_add_f32_e32 v28, v27, v28
	v_fmac_f32_e32 v29, 0x3f4178ce, v49
	v_mul_f32_e32 v90, 0xbf75a155, v35
	v_add_f32_e32 v28, v28, v29
	v_mov_b32_e32 v29, v90
	v_fmac_f32_e32 v29, 0xbe903f40, v63
	v_mul_f32_e32 v91, 0xbe11bafb, v36
	v_add_f32_e32 v28, v28, v29
	v_mov_b32_e32 v29, v91
	v_fmac_f32_e32 v29, 0xbf7d64f0, v64
	v_mul_f32_e32 v92, 0x3f575c64, v37
	v_add_f32_e32 v28, v28, v29
	v_mov_b32_e32 v29, v92
	v_fmac_f32_e32 v29, 0xbf0a6770, v65
	v_mul_f32_e32 v93, 0xbf68dda4, v38
	v_add_f32_e32 v29, v28, v29
	v_mov_b32_e32 v28, v93
	v_mul_f32_e32 v94, 0xbf4178ce, v39
	v_fmac_f32_e32 v28, 0x3ed4b147, v66
	v_mov_b32_e32 v30, v94
	v_add_f32_e32 v28, v25, v28
	v_fmac_f32_e32 v30, 0xbf27a4f4, v81
	v_mul_f32_e32 v95, 0x3e903f40, v40
	v_add_f32_e32 v28, v28, v30
	v_mov_b32_e32 v30, v95
	v_fmac_f32_e32 v30, 0xbf75a155, v83
	v_mul_f32_e32 v96, 0x3f7d64f0, v41
	v_add_f32_e32 v28, v28, v30
	v_mov_b32_e32 v30, v96
	v_fmac_f32_e32 v30, 0xbe11bafb, v85
	v_mul_f32_e32 v97, 0x3f0a6770, v42
	;; [unrolled: 20-line block ×5, first 2 shown]
	v_add_f32_e32 v32, v32, v33
	v_mov_b32_e32 v33, v112
	v_fmac_f32_e32 v33, 0xbf68dda4, v65
	v_mul_f32_e32 v113, 0xbf4178ce, v38
	v_add_f32_e32 v33, v32, v33
	v_mov_b32_e32 v32, v113
	v_mul_f32_e32 v114, 0x3f7d64f0, v39
	v_fmac_f32_e32 v32, 0xbf27a4f4, v66
	v_mov_b32_e32 v115, v114
	v_add_f32_e32 v32, v25, v32
	v_fmac_f32_e32 v115, 0xbe11bafb, v81
	v_add_f32_e32 v32, v32, v115
	v_mul_f32_e32 v115, 0xbf0a6770, v40
	v_mov_b32_e32 v116, v115
	v_fmac_f32_e32 v116, 0x3f575c64, v83
	v_add_f32_e32 v32, v32, v116
	v_mul_f32_e32 v116, 0xbe903f40, v41
	v_mov_b32_e32 v117, v116
	;; [unrolled: 4-line block ×3, first 2 shown]
	v_fmac_f32_e32 v118, 0x3ed4b147, v87
	v_mul_f32_e32 v26, 0xbf75a155, v26
	v_add_f32_e32 v32, v32, v118
	v_mov_b32_e32 v118, v26
	v_mul_f32_e32 v119, 0x3f575c64, v34
	v_fmac_f32_e32 v118, 0x3e903f40, v48
	v_mov_b32_e32 v34, v119
	v_add_f32_e32 v118, v27, v118
	v_fmac_f32_e32 v34, 0xbf0a6770, v49
	v_add_f32_e32 v34, v118, v34
	v_mul_f32_e32 v118, 0xbf27a4f4, v35
	v_mov_b32_e32 v35, v118
	v_fmac_f32_e32 v26, 0xbe903f40, v48
	v_fmac_f32_e32 v35, 0x3f4178ce, v63
	v_mul_f32_e32 v36, 0x3ed4b147, v36
	v_add_f32_e32 v26, v27, v26
	v_fmac_f32_e32 v119, 0x3f0a6770, v49
	v_add_f32_e32 v34, v34, v35
	v_mov_b32_e32 v35, v36
	v_add_f32_e32 v26, v26, v119
	v_fmac_f32_e32 v118, 0xbf4178ce, v63
	v_fmac_f32_e32 v35, 0xbf68dda4, v64
	v_mul_f32_e32 v37, 0xbe11bafb, v37
	v_add_f32_e32 v26, v26, v118
	v_fmac_f32_e32 v36, 0x3f68dda4, v64
	v_add_f32_e32 v34, v34, v35
	v_mov_b32_e32 v35, v37
	v_mul_f32_e32 v38, 0xbe903f40, v38
	v_add_f32_e32 v26, v26, v36
	v_fmac_f32_e32 v37, 0xbf7d64f0, v65
	v_mul_f32_e32 v39, 0x3f0a6770, v39
	v_add_f32_e32 v37, v26, v37
	v_fma_f32 v26, v66, s10, -v38
	v_mul_f32_e32 v40, 0xbf4178ce, v40
	v_add_f32_e32 v26, v25, v26
	v_fma_f32 v36, v81, s6, -v39
	;; [unrolled: 3-line block ×4, first 2 shown]
	v_add_f32_e32 v26, v26, v36
	v_fma_f32 v36, v87, s4, -v42
	v_fmac_f32_e32 v108, 0xbf4178ce, v48
	v_add_f32_e32 v36, v26, v36
	v_add_f32_e32 v26, v27, v108
	v_fmac_f32_e32 v109, 0x3f7d64f0, v49
	v_add_f32_e32 v26, v26, v109
	v_fmac_f32_e32 v110, 0xbf0a6770, v63
	;; [unrolled: 2-line block ×4, first 2 shown]
	v_fmac_f32_e32 v35, 0x3f7d64f0, v65
	v_mov_b32_e32 v120, v39
	v_add_f32_e32 v39, v26, v112
	v_fma_f32 v26, v66, s7, -v113
	v_add_f32_e32 v35, v34, v35
	v_mov_b32_e32 v34, v38
	v_add_f32_e32 v26, v25, v26
	v_fma_f32 v38, v81, s4, -v114
	v_add_f32_e32 v26, v26, v38
	v_fma_f32 v38, v83, s6, -v115
	;; [unrolled: 2-line block ×4, first 2 shown]
	v_fmac_f32_e32 v98, 0xbf7d64f0, v48
	v_fmac_f32_e32 v34, 0xbf75a155, v66
	v_add_f32_e32 v38, v26, v38
	v_add_f32_e32 v26, v27, v98
	v_fmac_f32_e32 v99, 0x3e903f40, v49
	v_add_f32_e32 v34, v25, v34
	v_fmac_f32_e32 v120, 0x3f575c64, v81
	;; [unrolled: 2-line block ×3, first 2 shown]
	v_add_f32_e32 v34, v34, v120
	v_mov_b32_e32 v120, v40
	v_add_f32_e32 v26, v26, v100
	v_fmac_f32_e32 v101, 0xbf0a6770, v64
	v_fmac_f32_e32 v120, 0xbf27a4f4, v83
	v_add_f32_e32 v26, v26, v101
	v_fmac_f32_e32 v102, 0xbf4178ce, v65
	v_add_f32_e32 v34, v34, v120
	v_mov_b32_e32 v120, v41
	v_add_f32_e32 v41, v26, v102
	v_fma_f32 v26, v66, s4, -v103
	v_add_f32_e32 v26, v25, v26
	v_fma_f32 v40, v81, s10, -v104
	;; [unrolled: 2-line block ×5, first 2 shown]
	v_fmac_f32_e32 v43, 0xbf68dda4, v48
	v_add_f32_e32 v40, v26, v40
	v_add_f32_e32 v26, v27, v43
	v_fmac_f32_e32 v89, 0xbf4178ce, v49
	v_add_f32_e32 v26, v26, v89
	v_fmac_f32_e32 v90, 0x3e903f40, v63
	v_add_f32_e32 v26, v26, v90
	v_fmac_f32_e32 v91, 0x3f7d64f0, v64
	v_add_f32_e32 v26, v26, v91
	v_fmac_f32_e32 v92, 0x3f0a6770, v65
	v_fmac_f32_e32 v120, 0x3ed4b147, v85
	v_add_f32_e32 v43, v26, v92
	v_fma_f32 v26, v66, s5, -v93
	v_add_f32_e32 v34, v34, v120
	v_mov_b32_e32 v120, v42
	v_add_f32_e32 v26, v25, v26
	v_fma_f32 v42, v81, s7, -v94
	v_add_f32_e32 v26, v26, v42
	v_fma_f32 v42, v83, s10, -v95
	;; [unrolled: 2-line block ×4, first 2 shown]
	v_fmac_f32_e32 v67, 0xbf0a6770, v48
	v_add_f32_e32 v42, v26, v42
	v_add_f32_e32 v26, v27, v67
	v_fmac_f32_e32 v68, 0xbf68dda4, v49
	v_add_f32_e32 v26, v26, v68
	v_fmac_f32_e32 v69, 0xbf7d64f0, v63
	;; [unrolled: 2-line block ×4, first 2 shown]
	v_add_f32_e32 v49, v26, v71
	v_fma_f32 v26, v66, s6, -v72
	v_add_f32_e32 v26, v25, v26
	v_fma_f32 v48, v81, s5, -v82
	;; [unrolled: 2-line block ×5, first 2 shown]
	v_add_f32_e32 v48, v26, v48
	v_add_f32_e32 v26, v27, v46
	;; [unrolled: 1-line block ×6, first 2 shown]
	v_lshrrev_b32_e32 v27, 2, v59
	v_add_f32_e32 v26, v79, v26
	v_mul_hi_u32 v27, v27, s11
	v_add_f32_e32 v26, v77, v26
	v_add_f32_e32 v26, v44, v26
	;; [unrolled: 1-line block ×5, first 2 shown]
	v_lshrrev_b32_e32 v25, 2, v27
	s_movk_i32 s11, 0x54
	v_mul_lo_u32 v25, v25, s11
	v_add_f32_e32 v0, v0, v51
	v_add_f32_e32 v0, v0, v50
	;; [unrolled: 1-line block ×3, first 2 shown]
	v_sub_u32_e32 v27, v59, v25
	v_mad_u64_u32 v[50:51], s[12:13], s2, v27, 0
	v_add_f32_e32 v0, v0, v61
	v_add_f32_e32 v0, v62, v0
	v_add_f32_e32 v25, v57, v0
	v_mov_b32_e32 v0, v51
	v_mad_u64_u32 v[51:52], s[12:13], s3, v27, v[0:1]
	v_add_f32_e32 v0, v56, v25
	v_lshlrev_b64 v[52:53], 3, v[73:74]
	v_add_f32_e32 v0, v55, v0
	v_add_f32_e32 v25, v54, v0
	v_mov_b32_e32 v0, s15
	v_add_co_u32_e32 v44, vcc, s14, v52
	v_addc_co_u32_e32 v46, vcc, v0, v53, vcc
	v_lshlrev_b64 v[0:1], 3, v[1:2]
	v_lshlrev_b64 v[50:51], 3, v[50:51]
	v_add_co_u32_e32 v0, vcc, v44, v0
	v_add_u32_e32 v44, 0x54, v27
	v_mad_u64_u32 v[52:53], s[12:13], s2, v44, 0
	v_addc_co_u32_e32 v1, vcc, v46, v1, vcc
	v_mov_b32_e32 v2, v53
	v_mad_u64_u32 v[53:54], s[12:13], s3, v44, v[2:3]
	v_add_u32_e32 v44, 0xa8, v27
	v_add_co_u32_e32 v50, vcc, v0, v50
	v_mad_u64_u32 v[54:55], s[12:13], s2, v44, 0
	v_addc_co_u32_e32 v51, vcc, v1, v51, vcc
	global_store_dwordx2 v[50:51], v[25:26], off
	v_lshlrev_b64 v[25:26], 3, v[52:53]
	v_mov_b32_e32 v2, v55
	v_add_co_u32_e32 v25, vcc, v0, v25
	v_mad_u64_u32 v[50:51], s[12:13], s3, v44, v[2:3]
	v_addc_co_u32_e32 v26, vcc, v1, v26, vcc
	v_add_u32_e32 v44, 0xfc, v27
	global_store_dwordx2 v[25:26], v[48:49], off
	v_mad_u64_u32 v[48:49], s[12:13], s2, v44, 0
	v_mov_b32_e32 v55, v50
	v_lshlrev_b64 v[25:26], 3, v[54:55]
	v_mov_b32_e32 v2, v49
	v_mad_u64_u32 v[49:50], s[12:13], s3, v44, v[2:3]
	v_add_u32_e32 v44, 0x150, v27
	v_mad_u64_u32 v[50:51], s[12:13], s2, v44, 0
	v_add_co_u32_e32 v25, vcc, v0, v25
	v_addc_co_u32_e32 v26, vcc, v1, v26, vcc
	v_mov_b32_e32 v2, v51
	global_store_dwordx2 v[25:26], v[42:43], off
	v_mad_u64_u32 v[42:43], s[12:13], s3, v44, v[2:3]
	v_lshlrev_b64 v[25:26], 3, v[48:49]
	v_add_u32_e32 v44, 0x1f8, v27
	v_add_co_u32_e32 v25, vcc, v0, v25
	v_addc_co_u32_e32 v26, vcc, v1, v26, vcc
	v_mov_b32_e32 v51, v42
	v_add_u32_e32 v42, 0x1a4, v27
	global_store_dwordx2 v[25:26], v[40:41], off
	v_mad_u64_u32 v[40:41], s[12:13], s2, v42, 0
	v_lshlrev_b64 v[25:26], 3, v[50:51]
	v_fmac_f32_e32 v120, 0xbe11bafb, v87
	v_mov_b32_e32 v2, v41
	v_mad_u64_u32 v[41:42], s[12:13], s3, v42, v[2:3]
	v_mad_u64_u32 v[42:43], s[12:13], s2, v44, 0
	v_add_co_u32_e32 v25, vcc, v0, v25
	v_addc_co_u32_e32 v26, vcc, v1, v26, vcc
	v_mov_b32_e32 v2, v43
	global_store_dwordx2 v[25:26], v[38:39], off
	v_mad_u64_u32 v[38:39], s[12:13], s3, v44, v[2:3]
	v_lshlrev_b64 v[25:26], 3, v[40:41]
	v_add_u32_e32 v40, 0x2a0, v27
	v_add_co_u32_e32 v25, vcc, v0, v25
	v_addc_co_u32_e32 v26, vcc, v1, v26, vcc
	v_mov_b32_e32 v43, v38
	v_add_u32_e32 v38, 0x24c, v27
	global_store_dwordx2 v[25:26], v[36:37], off
	v_mad_u64_u32 v[36:37], s[12:13], s2, v38, 0
	v_lshlrev_b64 v[25:26], 3, v[42:43]
	v_add_f32_e32 v34, v34, v120
	v_mov_b32_e32 v2, v37
	v_mad_u64_u32 v[37:38], s[12:13], s3, v38, v[2:3]
	v_mad_u64_u32 v[38:39], s[12:13], s2, v40, 0
	v_add_co_u32_e32 v25, vcc, v0, v25
	v_addc_co_u32_e32 v26, vcc, v1, v26, vcc
	v_mov_b32_e32 v2, v39
	global_store_dwordx2 v[25:26], v[34:35], off
	v_mad_u64_u32 v[34:35], s[12:13], s3, v40, v[2:3]
	v_lshlrev_b64 v[25:26], 3, v[36:37]
	v_add_co_u32_e32 v25, vcc, v0, v25
	v_addc_co_u32_e32 v26, vcc, v1, v26, vcc
	v_mov_b32_e32 v39, v34
	v_add_u32_e32 v34, 0x2f4, v27
	global_store_dwordx2 v[25:26], v[32:33], off
	v_mad_u64_u32 v[32:33], s[12:13], s2, v34, 0
	v_add_u32_e32 v27, 0x348, v27
	v_lshlrev_b64 v[25:26], 3, v[38:39]
	v_mov_b32_e32 v2, v33
	v_mad_u64_u32 v[33:34], s[12:13], s3, v34, v[2:3]
	v_mad_u64_u32 v[34:35], s[12:13], s2, v27, 0
	v_add_co_u32_e32 v25, vcc, v0, v25
	v_addc_co_u32_e32 v26, vcc, v1, v26, vcc
	v_mov_b32_e32 v2, v35
	global_store_dwordx2 v[25:26], v[30:31], off
	v_mad_u64_u32 v[30:31], s[12:13], s3, v27, v[2:3]
	v_lshlrev_b64 v[25:26], 3, v[32:33]
	v_add_u32_e32 v2, 44, v59
	v_add_co_u32_e32 v25, vcc, v0, v25
	v_addc_co_u32_e32 v26, vcc, v1, v26, vcc
	v_mov_b32_e32 v35, v30
	global_store_dwordx2 v[25:26], v[28:29], off
	v_lshlrev_b64 v[25:26], 3, v[34:35]
	v_add_co_u32_e32 v25, vcc, v0, v25
	v_addc_co_u32_e32 v26, vcc, v1, v26, vcc
	v_cmp_gt_u32_e32 vcc, s11, v2
	global_store_dwordx2 v[25:26], v[3:4], off
	s_and_b64 exec, exec, vcc
	s_cbranch_execz .LBB0_34
; %bb.33:
	v_subrev_u32_e32 v3, 40, v59
	v_cndmask_b32_e64 v3, v3, v60, s[0:1]
	v_mul_i32_i24_e32 v3, 10, v3
	v_mov_b32_e32 v4, 0
	v_lshlrev_b64 v[3:4], 3, v[3:4]
	v_mov_b32_e32 v25, s9
	v_add_co_u32_e32 v3, vcc, s8, v3
	v_addc_co_u32_e32 v4, vcc, v25, v4, vcc
	global_load_dwordx4 v[25:28], v[3:4], off offset:656
	global_load_dwordx4 v[29:32], v[3:4], off offset:672
	;; [unrolled: 1-line block ×5, first 2 shown]
	s_waitcnt vmcnt(4)
	v_mul_f32_e32 v3, v17, v26
	v_mul_f32_e32 v4, v9, v26
	;; [unrolled: 1-line block ×3, first 2 shown]
	v_fma_f32 v3, v9, v25, -v3
	s_waitcnt vmcnt(0)
	v_mul_f32_e32 v53, v7, v42
	v_mul_f32_e32 v42, v5, v42
	;; [unrolled: 1-line block ×11, first 2 shown]
	v_fma_f32 v9, v10, v27, -v26
	v_fmac_f32_e32 v42, v7, v41
	v_fma_f32 v6, v6, v43, -v54
	v_add_f32_e32 v7, v45, v3
	v_mul_f32_e32 v30, v11, v30
	v_mul_f32_e32 v32, v12, v32
	v_mul_f32_e32 v34, v13, v34
	v_mul_f32_e32 v36, v14, v36
	v_mul_f32_e32 v38, v15, v38
	v_mul_f32_e32 v40, v16, v40
	v_fmac_f32_e32 v28, v18, v27
	v_fma_f32 v10, v11, v29, -v46
	v_fma_f32 v11, v12, v31, -v48
	;; [unrolled: 1-line block ×6, first 2 shown]
	v_add_f32_e32 v16, v3, v6
	v_sub_f32_e32 v18, v3, v6
	v_add_f32_e32 v3, v7, v9
	v_add_f32_e32 v3, v3, v10
	v_fmac_f32_e32 v4, v17, v25
	v_add_f32_e32 v3, v3, v11
	v_fmac_f32_e32 v44, v8, v43
	v_add_f32_e32 v8, v47, v4
	v_add_f32_e32 v3, v3, v12
	v_fmac_f32_e32 v30, v19, v29
	v_add_f32_e32 v17, v4, v44
	v_sub_f32_e32 v19, v4, v44
	v_add_f32_e32 v4, v8, v28
	v_add_f32_e32 v3, v3, v13
	v_fmac_f32_e32 v32, v20, v31
	v_add_f32_e32 v4, v4, v30
	v_add_f32_e32 v3, v3, v14
	v_fmac_f32_e32 v34, v21, v33
	v_fma_f32 v5, v5, v41, -v53
	v_mul_f32_e32 v21, 0xbf68dda4, v18
	v_add_f32_e32 v4, v4, v32
	v_add_f32_e32 v3, v3, v15
	v_fmac_f32_e32 v36, v22, v35
	v_mul_f32_e32 v8, 0xbf0a6770, v18
	v_fma_f32 v25, v17, s5, -v21
	v_add_f32_e32 v4, v4, v34
	v_add_f32_e32 v3, v3, v5
	v_mul_f32_e32 v27, 0xbf7d64f0, v18
	v_mul_f32_e32 v35, 0xbf4178ce, v18
	;; [unrolled: 1-line block ×3, first 2 shown]
	v_fmac_f32_e32 v38, v23, v37
	v_mul_f32_e32 v7, 0xbf0a6770, v19
	v_mul_f32_e32 v20, 0xbf68dda4, v19
	v_add_f32_e32 v4, v4, v36
	v_add_f32_e32 v3, v3, v6
	;; [unrolled: 1-line block ×3, first 2 shown]
	v_mul_f32_e32 v25, 0xbf7d64f0, v19
	v_mul_f32_e32 v31, 0xbf4178ce, v19
	v_mul_f32_e32 v19, 0xbe903f40, v19
	v_mov_b32_e32 v41, v18
	v_fmac_f32_e32 v40, v24, v39
	v_fma_f32 v23, v17, s6, -v8
	v_fmac_f32_e32 v8, 0x3f575c64, v17
	v_fmac_f32_e32 v21, 0x3ed4b147, v17
	v_add_f32_e32 v4, v4, v38
	v_fma_f32 v29, v17, s4, -v27
	v_fmac_f32_e32 v27, 0xbe11bafb, v17
	v_fma_f32 v37, v17, s7, -v35
	v_fmac_f32_e32 v35, 0xbf27a4f4, v17
	;; [unrolled: 2-line block ×3, first 2 shown]
	v_fmac_f32_e32 v19, 0xbf75a155, v16
	v_fma_f32 v17, v17, s10, -v18
	v_add_f32_e32 v18, v9, v5
	v_sub_f32_e32 v5, v9, v5
	v_sub_f32_e32 v9, v28, v42
	v_fma_f32 v22, v16, s6, -v7
	v_fmac_f32_e32 v7, 0x3f575c64, v16
	v_fma_f32 v24, v16, s5, -v20
	v_fmac_f32_e32 v20, 0x3ed4b147, v16
	v_add_f32_e32 v4, v4, v40
	v_fma_f32 v26, v16, s4, -v25
	v_fmac_f32_e32 v25, 0xbe11bafb, v16
	v_fma_f32 v33, v16, s7, -v31
	v_fmac_f32_e32 v31, 0xbf27a4f4, v16
	v_add_f32_e32 v16, v45, v19
	v_add_f32_e32 v19, v28, v42
	v_mul_f32_e32 v28, 0xbf68dda4, v9
	v_add_f32_e32 v22, v45, v22
	v_add_f32_e32 v4, v4, v42
	v_fma_f32 v42, v18, s5, -v28
	v_add_f32_e32 v7, v45, v7
	v_add_f32_e32 v22, v42, v22
	v_mul_f32_e32 v42, 0xbf68dda4, v5
	v_fmac_f32_e32 v28, 0x3ed4b147, v18
	v_add_f32_e32 v8, v47, v8
	v_fma_f32 v43, v19, s5, -v42
	v_fmac_f32_e32 v42, 0x3ed4b147, v19
	v_add_f32_e32 v7, v28, v7
	v_mul_f32_e32 v28, 0xbf4178ce, v9
	v_add_f32_e32 v24, v45, v24
	v_add_f32_e32 v8, v42, v8
	v_fma_f32 v42, v18, s7, -v28
	v_add_f32_e32 v23, v47, v23
	v_add_f32_e32 v20, v45, v20
	;; [unrolled: 1-line block ×3, first 2 shown]
	v_mul_f32_e32 v42, 0xbf4178ce, v5
	v_fmac_f32_e32 v28, 0xbf27a4f4, v18
	v_add_f32_e32 v21, v47, v21
	v_add_f32_e32 v23, v43, v23
	v_fma_f32 v43, v19, s7, -v42
	v_fmac_f32_e32 v42, 0xbf27a4f4, v19
	v_add_f32_e32 v20, v28, v20
	v_mul_f32_e32 v28, 0x3e903f40, v9
	v_add_f32_e32 v26, v45, v26
	v_add_f32_e32 v21, v42, v21
	v_fma_f32 v42, v18, s10, -v28
	v_add_f32_e32 v26, v42, v26
	v_mul_f32_e32 v42, 0x3e903f40, v5
	v_add_f32_e32 v25, v45, v25
	v_add_f32_e32 v29, v47, v29
	;; [unrolled: 1-line block ×3, first 2 shown]
	v_fma_f32 v43, v19, s10, -v42
	v_fmac_f32_e32 v28, 0xbf75a155, v18
	v_add_f32_e32 v27, v47, v27
	v_fmac_f32_e32 v42, 0xbf75a155, v19
	v_add_f32_e32 v25, v28, v25
	v_add_f32_e32 v28, v43, v29
	v_mul_f32_e32 v29, 0x3f7d64f0, v9
	v_add_f32_e32 v33, v45, v33
	v_add_f32_e32 v27, v42, v27
	v_fma_f32 v42, v18, s4, -v29
	v_add_f32_e32 v33, v42, v33
	v_mul_f32_e32 v42, 0x3f7d64f0, v5
	v_add_f32_e32 v31, v45, v31
	v_add_f32_e32 v37, v47, v37
	v_fma_f32 v43, v19, s4, -v42
	v_fmac_f32_e32 v29, 0xbe11bafb, v18
	v_mul_f32_e32 v9, 0x3f0a6770, v9
	v_add_f32_e32 v29, v29, v31
	v_add_f32_e32 v31, v43, v37
	v_fma_f32 v37, v18, s6, -v9
	v_fmac_f32_e32 v9, 0x3f575c64, v18
	v_add_f32_e32 v39, v45, v39
	v_mul_f32_e32 v5, 0x3f0a6770, v5
	v_add_f32_e32 v9, v9, v16
	v_add_f32_e32 v16, v10, v15
	v_sub_f32_e32 v10, v10, v15
	v_sub_f32_e32 v15, v30, v40
	v_add_f32_e32 v37, v37, v39
	v_mov_b32_e32 v39, v5
	v_mul_f32_e32 v18, 0xbf7d64f0, v15
	v_add_f32_e32 v17, v47, v17
	v_fmac_f32_e32 v42, 0xbe11bafb, v19
	v_fmac_f32_e32 v39, 0x3f575c64, v19
	v_fma_f32 v5, v19, s6, -v5
	v_fma_f32 v19, v16, s4, -v18
	v_add_f32_e32 v5, v5, v17
	v_add_f32_e32 v17, v30, v40
	;; [unrolled: 1-line block ×3, first 2 shown]
	v_mul_f32_e32 v22, 0xbf7d64f0, v10
	v_fma_f32 v30, v17, s4, -v22
	v_fmac_f32_e32 v22, 0xbe11bafb, v17
	v_add_f32_e32 v8, v22, v8
	v_fmac_f32_e32 v18, 0xbe11bafb, v16
	v_mul_f32_e32 v22, 0x3e903f40, v15
	v_add_f32_e32 v7, v18, v7
	v_add_f32_e32 v18, v30, v23
	v_fma_f32 v23, v16, s10, -v22
	v_add_f32_e32 v23, v23, v24
	v_mul_f32_e32 v24, 0x3e903f40, v10
	v_fmac_f32_e32 v22, 0xbf75a155, v16
	v_fma_f32 v30, v17, s10, -v24
	v_fmac_f32_e32 v24, 0xbf75a155, v17
	v_add_f32_e32 v20, v22, v20
	v_mul_f32_e32 v22, 0x3f68dda4, v15
	v_add_f32_e32 v21, v24, v21
	v_fma_f32 v24, v16, s5, -v22
	v_add_f32_e32 v24, v24, v26
	v_mul_f32_e32 v26, 0x3f68dda4, v10
	v_add_f32_e32 v6, v30, v6
	v_fma_f32 v30, v17, s5, -v26
	v_fmac_f32_e32 v26, 0x3ed4b147, v17
	v_add_f32_e32 v26, v26, v27
	v_fmac_f32_e32 v22, 0x3ed4b147, v16
	v_mul_f32_e32 v27, 0xbf0a6770, v15
	v_add_f32_e32 v22, v22, v25
	v_add_f32_e32 v25, v30, v28
	v_fma_f32 v28, v16, s6, -v27
	v_mul_f32_e32 v30, 0xbf0a6770, v10
	v_add_f32_e32 v28, v28, v33
	v_fma_f32 v33, v17, s6, -v30
	v_fmac_f32_e32 v27, 0x3f575c64, v16
	v_mul_f32_e32 v10, 0xbf4178ce, v10
	v_add_f32_e32 v27, v27, v29
	v_add_f32_e32 v29, v33, v31
	v_mov_b32_e32 v33, v10
	v_fma_f32 v10, v17, s7, -v10
	v_mul_f32_e32 v15, 0xbf4178ce, v15
	v_add_f32_e32 v5, v10, v5
	v_add_f32_e32 v10, v11, v14
	v_sub_f32_e32 v11, v11, v14
	v_sub_f32_e32 v14, v32, v38
	v_fma_f32 v31, v16, s7, -v15
	v_fmac_f32_e32 v15, 0xbf27a4f4, v16
	v_mul_f32_e32 v16, 0xbf4178ce, v14
	v_fmac_f32_e32 v30, 0x3f575c64, v17
	v_fmac_f32_e32 v33, 0xbf27a4f4, v17
	v_fma_f32 v17, v10, s7, -v16
	v_add_f32_e32 v9, v15, v9
	v_add_f32_e32 v15, v32, v38
	;; [unrolled: 1-line block ×3, first 2 shown]
	v_mul_f32_e32 v19, 0xbf4178ce, v11
	v_fma_f32 v32, v15, s7, -v19
	v_fmac_f32_e32 v16, 0xbf27a4f4, v10
	v_fmac_f32_e32 v19, 0xbf27a4f4, v15
	v_add_f32_e32 v7, v16, v7
	v_add_f32_e32 v16, v32, v18
	v_mul_f32_e32 v18, 0x3f7d64f0, v14
	v_add_f32_e32 v8, v19, v8
	v_fma_f32 v19, v10, s4, -v18
	v_add_f32_e32 v19, v19, v23
	v_mul_f32_e32 v23, 0x3f7d64f0, v11
	v_fma_f32 v32, v15, s4, -v23
	v_fmac_f32_e32 v18, 0xbe11bafb, v10
	v_fmac_f32_e32 v23, 0xbe11bafb, v15
	v_add_f32_e32 v18, v18, v20
	v_add_f32_e32 v20, v32, v6
	v_mul_f32_e32 v6, 0xbf0a6770, v14
	v_add_f32_e32 v21, v23, v21
	v_fma_f32 v23, v10, s6, -v6
	v_add_f32_e32 v23, v23, v24
	v_mul_f32_e32 v24, 0xbf0a6770, v11
	v_fmac_f32_e32 v6, 0x3f575c64, v10
	v_fma_f32 v32, v15, s6, -v24
	v_fmac_f32_e32 v24, 0x3f575c64, v15
	v_add_f32_e32 v22, v6, v22
	v_mul_f32_e32 v6, 0xbe903f40, v14
	v_add_f32_e32 v35, v47, v35
	v_add_f32_e32 v24, v24, v26
	v_fma_f32 v26, v10, s10, -v6
	v_fmac_f32_e32 v6, 0xbf75a155, v10
	v_add_f32_e32 v35, v42, v35
	v_add_f32_e32 v26, v26, v28
	v_mul_f32_e32 v28, 0xbe903f40, v11
	v_add_f32_e32 v27, v6, v27
	v_mul_f32_e32 v6, 0x3f68dda4, v14
	v_add_f32_e32 v41, v47, v41
	v_add_f32_e32 v30, v30, v35
	;; [unrolled: 1-line block ×4, first 2 shown]
	v_fma_f32 v32, v15, s10, -v28
	v_fmac_f32_e32 v28, 0xbf75a155, v15
	v_fma_f32 v14, v10, s5, -v6
	v_mul_f32_e32 v11, 0x3f68dda4, v11
	v_add_f32_e32 v39, v39, v41
	v_add_f32_e32 v28, v28, v30
	;; [unrolled: 1-line block ×3, first 2 shown]
	v_mov_b32_e32 v14, v11
	v_fmac_f32_e32 v6, 0x3ed4b147, v10
	v_add_f32_e32 v33, v33, v39
	v_add_f32_e32 v29, v32, v29
	v_fmac_f32_e32 v14, 0x3ed4b147, v15
	v_add_f32_e32 v32, v6, v9
	v_fma_f32 v6, v15, s5, -v11
	v_sub_f32_e32 v38, v12, v13
	v_add_f32_e32 v31, v14, v33
	v_add_f32_e32 v33, v6, v5
	;; [unrolled: 1-line block ×3, first 2 shown]
	v_sub_f32_e32 v34, v34, v36
	v_mul_f32_e32 v6, 0xbe903f40, v38
	v_add_f32_e32 v35, v12, v13
	v_mul_f32_e32 v9, 0xbe903f40, v34
	v_fma_f32 v10, v37, s10, -v6
	v_fmac_f32_e32 v6, 0xbf75a155, v37
	v_mul_f32_e32 v15, 0xbf4178ce, v34
	v_mul_f32_e32 v14, 0xbf4178ce, v38
	v_fma_f32 v5, v35, s10, -v9
	v_add_f32_e32 v6, v6, v8
	v_fmac_f32_e32 v9, 0xbf75a155, v35
	v_add_f32_e32 v8, v10, v16
	v_mul_f32_e32 v11, 0x3f0a6770, v34
	v_fma_f32 v13, v35, s7, -v15
	v_fma_f32 v16, v37, s7, -v14
	v_fmac_f32_e32 v14, 0xbf27a4f4, v37
	v_add_f32_e32 v7, v9, v7
	v_fma_f32 v9, v35, s6, -v11
	v_mul_f32_e32 v10, 0x3f0a6770, v38
	v_fmac_f32_e32 v11, 0x3f575c64, v35
	v_add_f32_e32 v13, v13, v23
	v_add_f32_e32 v14, v14, v24
	v_mad_u64_u32 v[23:24], s[0:1], s2, v2, 0
	v_add_f32_e32 v9, v9, v19
	v_fma_f32 v12, v37, s6, -v10
	v_add_f32_e32 v11, v11, v18
	v_mul_f32_e32 v19, 0x3f68dda4, v34
	v_mul_f32_e32 v18, 0x3f68dda4, v38
	v_add_f32_e32 v5, v5, v17
	v_add_f32_e32 v12, v12, v20
	v_fma_f32 v17, v35, s5, -v19
	v_fma_f32 v20, v37, s5, -v18
	v_fmac_f32_e32 v19, 0x3ed4b147, v35
	v_fmac_f32_e32 v15, 0xbf27a4f4, v35
	;; [unrolled: 1-line block ×3, first 2 shown]
	v_add_f32_e32 v19, v19, v27
	v_add_f32_e32 v20, v20, v29
	v_mul_f32_e32 v27, 0xbf7d64f0, v38
	v_add_u32_e32 v29, 0x80, v59
	v_add_f32_e32 v15, v15, v22
	v_add_f32_e32 v16, v16, v25
	;; [unrolled: 1-line block ×3, first 2 shown]
	v_mov_b32_e32 v22, v27
	v_mad_u64_u32 v[24:25], s[0:1], s3, v2, v[24:25]
	v_fma_f32 v2, v37, s4, -v27
	v_mad_u64_u32 v[27:28], s[0:1], s2, v29, 0
	v_fmac_f32_e32 v10, 0x3f575c64, v37
	v_add_f32_e32 v17, v17, v26
	v_mul_f32_e32 v26, 0xbf7d64f0, v34
	v_add_f32_e32 v10, v10, v21
	v_fma_f32 v21, v35, s4, -v26
	v_fmac_f32_e32 v26, 0xbe11bafb, v35
	v_add_f32_e32 v25, v26, v32
	v_add_f32_e32 v26, v2, v33
	v_mov_b32_e32 v2, v28
	v_lshlrev_b64 v[23:24], 3, v[23:24]
	v_mad_u64_u32 v[28:29], s[0:1], s3, v29, v[2:3]
	v_fmac_f32_e32 v22, 0xbe11bafb, v37
	v_add_co_u32_e32 v23, vcc, v0, v23
	v_add_f32_e32 v4, v4, v44
	v_add_f32_e32 v22, v22, v31
	v_addc_co_u32_e32 v24, vcc, v1, v24, vcc
	v_add_u32_e32 v31, 0xd4, v59
	v_add_f32_e32 v21, v21, v30
	v_mad_u64_u32 v[29:30], s[0:1], s2, v31, 0
	global_store_dwordx2 v[23:24], v[3:4], off
	v_lshlrev_b64 v[2:3], 3, v[27:28]
	v_mov_b32_e32 v4, v30
	v_add_co_u32_e32 v2, vcc, v0, v2
	v_addc_co_u32_e32 v3, vcc, v1, v3, vcc
	global_store_dwordx2 v[2:3], v[5:6], off
	v_add_u32_e32 v6, 0x128, v59
	v_mad_u64_u32 v[23:24], s[0:1], s3, v31, v[4:5]
	v_mad_u64_u32 v[4:5], s[0:1], s2, v6, 0
	v_mov_b32_e32 v30, v23
	v_lshlrev_b64 v[2:3], 3, v[29:30]
	v_mad_u64_u32 v[5:6], s[0:1], s3, v6, v[5:6]
	v_add_u32_e32 v6, 0x17c, v59
	v_mad_u64_u32 v[23:24], s[0:1], s2, v6, 0
	v_add_co_u32_e32 v2, vcc, v0, v2
	v_addc_co_u32_e32 v3, vcc, v1, v3, vcc
	global_store_dwordx2 v[2:3], v[9:10], off
	v_lshlrev_b64 v[2:3], 3, v[4:5]
	v_mov_b32_e32 v4, v24
	v_mad_u64_u32 v[4:5], s[0:1], s3, v6, v[4:5]
	v_add_u32_e32 v6, 0x1d0, v59
	v_add_co_u32_e32 v2, vcc, v0, v2
	v_mov_b32_e32 v24, v4
	v_mad_u64_u32 v[4:5], s[0:1], s2, v6, 0
	v_addc_co_u32_e32 v3, vcc, v1, v3, vcc
	v_mad_u64_u32 v[5:6], s[0:1], s3, v6, v[5:6]
	v_add_u32_e32 v6, 0x224, v59
	global_store_dwordx2 v[2:3], v[13:14], off
	v_lshlrev_b64 v[2:3], 3, v[23:24]
	v_mad_u64_u32 v[9:10], s[0:1], s2, v6, 0
	v_add_co_u32_e32 v2, vcc, v0, v2
	v_addc_co_u32_e32 v3, vcc, v1, v3, vcc
	global_store_dwordx2 v[2:3], v[17:18], off
	v_lshlrev_b64 v[2:3], 3, v[4:5]
	v_mov_b32_e32 v4, v10
	v_mad_u64_u32 v[4:5], s[0:1], s3, v6, v[4:5]
	v_add_u32_e32 v6, 0x278, v59
	v_add_co_u32_e32 v2, vcc, v0, v2
	v_mov_b32_e32 v10, v4
	v_mad_u64_u32 v[4:5], s[0:1], s2, v6, 0
	v_addc_co_u32_e32 v3, vcc, v1, v3, vcc
	v_mad_u64_u32 v[5:6], s[0:1], s3, v6, v[5:6]
	v_add_u32_e32 v6, 0x2cc, v59
	global_store_dwordx2 v[2:3], v[21:22], off
	v_lshlrev_b64 v[2:3], 3, v[9:10]
	;; [unrolled: 16-line block ×3, first 2 shown]
	v_mad_u64_u32 v[9:10], s[0:1], s2, v6, 0
	v_add_co_u32_e32 v2, vcc, v0, v2
	v_addc_co_u32_e32 v3, vcc, v1, v3, vcc
	global_store_dwordx2 v[2:3], v[15:16], off
	v_lshlrev_b64 v[2:3], 3, v[4:5]
	v_mov_b32_e32 v4, v10
	v_mad_u64_u32 v[4:5], s[0:1], s3, v6, v[4:5]
	v_add_co_u32_e32 v2, vcc, v0, v2
	v_addc_co_u32_e32 v3, vcc, v1, v3, vcc
	v_mov_b32_e32 v10, v4
	global_store_dwordx2 v[2:3], v[11:12], off
	v_lshlrev_b64 v[2:3], 3, v[9:10]
	v_add_co_u32_e32 v0, vcc, v0, v2
	v_addc_co_u32_e32 v1, vcc, v1, v3, vcc
	global_store_dwordx2 v[0:1], v[7:8], off
.LBB0_34:
	s_endpgm
	.section	.rodata,"a",@progbits
	.p2align	6, 0x0
	.amdhsa_kernel fft_rtc_fwd_len924_factors_2_2_3_7_11_wgs_44_tpt_44_halfLds_sp_op_CI_CI_sbrr_dirReg
		.amdhsa_group_segment_fixed_size 0
		.amdhsa_private_segment_fixed_size 0
		.amdhsa_kernarg_size 104
		.amdhsa_user_sgpr_count 6
		.amdhsa_user_sgpr_private_segment_buffer 1
		.amdhsa_user_sgpr_dispatch_ptr 0
		.amdhsa_user_sgpr_queue_ptr 0
		.amdhsa_user_sgpr_kernarg_segment_ptr 1
		.amdhsa_user_sgpr_dispatch_id 0
		.amdhsa_user_sgpr_flat_scratch_init 0
		.amdhsa_user_sgpr_private_segment_size 0
		.amdhsa_uses_dynamic_stack 0
		.amdhsa_system_sgpr_private_segment_wavefront_offset 0
		.amdhsa_system_sgpr_workgroup_id_x 1
		.amdhsa_system_sgpr_workgroup_id_y 0
		.amdhsa_system_sgpr_workgroup_id_z 0
		.amdhsa_system_sgpr_workgroup_info 0
		.amdhsa_system_vgpr_workitem_id 0
		.amdhsa_next_free_vgpr 121
		.amdhsa_next_free_sgpr 32
		.amdhsa_reserve_vcc 1
		.amdhsa_reserve_flat_scratch 0
		.amdhsa_float_round_mode_32 0
		.amdhsa_float_round_mode_16_64 0
		.amdhsa_float_denorm_mode_32 3
		.amdhsa_float_denorm_mode_16_64 3
		.amdhsa_dx10_clamp 1
		.amdhsa_ieee_mode 1
		.amdhsa_fp16_overflow 0
		.amdhsa_exception_fp_ieee_invalid_op 0
		.amdhsa_exception_fp_denorm_src 0
		.amdhsa_exception_fp_ieee_div_zero 0
		.amdhsa_exception_fp_ieee_overflow 0
		.amdhsa_exception_fp_ieee_underflow 0
		.amdhsa_exception_fp_ieee_inexact 0
		.amdhsa_exception_int_div_zero 0
	.end_amdhsa_kernel
	.text
.Lfunc_end0:
	.size	fft_rtc_fwd_len924_factors_2_2_3_7_11_wgs_44_tpt_44_halfLds_sp_op_CI_CI_sbrr_dirReg, .Lfunc_end0-fft_rtc_fwd_len924_factors_2_2_3_7_11_wgs_44_tpt_44_halfLds_sp_op_CI_CI_sbrr_dirReg
                                        ; -- End function
	.section	.AMDGPU.csdata,"",@progbits
; Kernel info:
; codeLenInByte = 14808
; NumSgprs: 36
; NumVgprs: 121
; ScratchSize: 0
; MemoryBound: 0
; FloatMode: 240
; IeeeMode: 1
; LDSByteSize: 0 bytes/workgroup (compile time only)
; SGPRBlocks: 4
; VGPRBlocks: 30
; NumSGPRsForWavesPerEU: 36
; NumVGPRsForWavesPerEU: 121
; Occupancy: 2
; WaveLimiterHint : 1
; COMPUTE_PGM_RSRC2:SCRATCH_EN: 0
; COMPUTE_PGM_RSRC2:USER_SGPR: 6
; COMPUTE_PGM_RSRC2:TRAP_HANDLER: 0
; COMPUTE_PGM_RSRC2:TGID_X_EN: 1
; COMPUTE_PGM_RSRC2:TGID_Y_EN: 0
; COMPUTE_PGM_RSRC2:TGID_Z_EN: 0
; COMPUTE_PGM_RSRC2:TIDIG_COMP_CNT: 0
	.type	__hip_cuid_d3992df5ea6e2443,@object ; @__hip_cuid_d3992df5ea6e2443
	.section	.bss,"aw",@nobits
	.globl	__hip_cuid_d3992df5ea6e2443
__hip_cuid_d3992df5ea6e2443:
	.byte	0                               ; 0x0
	.size	__hip_cuid_d3992df5ea6e2443, 1

	.ident	"AMD clang version 19.0.0git (https://github.com/RadeonOpenCompute/llvm-project roc-6.4.0 25133 c7fe45cf4b819c5991fe208aaa96edf142730f1d)"
	.section	".note.GNU-stack","",@progbits
	.addrsig
	.addrsig_sym __hip_cuid_d3992df5ea6e2443
	.amdgpu_metadata
---
amdhsa.kernels:
  - .args:
      - .actual_access:  read_only
        .address_space:  global
        .offset:         0
        .size:           8
        .value_kind:     global_buffer
      - .offset:         8
        .size:           8
        .value_kind:     by_value
      - .actual_access:  read_only
        .address_space:  global
        .offset:         16
        .size:           8
        .value_kind:     global_buffer
      - .actual_access:  read_only
        .address_space:  global
        .offset:         24
        .size:           8
        .value_kind:     global_buffer
      - .actual_access:  read_only
        .address_space:  global
        .offset:         32
        .size:           8
        .value_kind:     global_buffer
      - .offset:         40
        .size:           8
        .value_kind:     by_value
      - .actual_access:  read_only
        .address_space:  global
        .offset:         48
        .size:           8
        .value_kind:     global_buffer
      - .actual_access:  read_only
        .address_space:  global
        .offset:         56
        .size:           8
        .value_kind:     global_buffer
      - .offset:         64
        .size:           4
        .value_kind:     by_value
      - .actual_access:  read_only
        .address_space:  global
        .offset:         72
        .size:           8
        .value_kind:     global_buffer
      - .actual_access:  read_only
        .address_space:  global
        .offset:         80
        .size:           8
        .value_kind:     global_buffer
      - .actual_access:  read_only
        .address_space:  global
        .offset:         88
        .size:           8
        .value_kind:     global_buffer
      - .actual_access:  write_only
        .address_space:  global
        .offset:         96
        .size:           8
        .value_kind:     global_buffer
    .group_segment_fixed_size: 0
    .kernarg_segment_align: 8
    .kernarg_segment_size: 104
    .language:       OpenCL C
    .language_version:
      - 2
      - 0
    .max_flat_workgroup_size: 44
    .name:           fft_rtc_fwd_len924_factors_2_2_3_7_11_wgs_44_tpt_44_halfLds_sp_op_CI_CI_sbrr_dirReg
    .private_segment_fixed_size: 0
    .sgpr_count:     36
    .sgpr_spill_count: 0
    .symbol:         fft_rtc_fwd_len924_factors_2_2_3_7_11_wgs_44_tpt_44_halfLds_sp_op_CI_CI_sbrr_dirReg.kd
    .uniform_work_group_size: 1
    .uses_dynamic_stack: false
    .vgpr_count:     121
    .vgpr_spill_count: 0
    .wavefront_size: 64
amdhsa.target:   amdgcn-amd-amdhsa--gfx906
amdhsa.version:
  - 1
  - 2
...

	.end_amdgpu_metadata
